;; amdgpu-corpus repo=ROCm/rocFFT kind=compiled arch=gfx1030 opt=O3
	.text
	.amdgcn_target "amdgcn-amd-amdhsa--gfx1030"
	.amdhsa_code_object_version 6
	.protected	fft_rtc_fwd_len1960_factors_4_7_2_7_5_wgs_56_tpt_56_halfLds_sp_op_CI_CI_sbrr_dirReg ; -- Begin function fft_rtc_fwd_len1960_factors_4_7_2_7_5_wgs_56_tpt_56_halfLds_sp_op_CI_CI_sbrr_dirReg
	.globl	fft_rtc_fwd_len1960_factors_4_7_2_7_5_wgs_56_tpt_56_halfLds_sp_op_CI_CI_sbrr_dirReg
	.p2align	8
	.type	fft_rtc_fwd_len1960_factors_4_7_2_7_5_wgs_56_tpt_56_halfLds_sp_op_CI_CI_sbrr_dirReg,@function
fft_rtc_fwd_len1960_factors_4_7_2_7_5_wgs_56_tpt_56_halfLds_sp_op_CI_CI_sbrr_dirReg: ; @fft_rtc_fwd_len1960_factors_4_7_2_7_5_wgs_56_tpt_56_halfLds_sp_op_CI_CI_sbrr_dirReg
; %bb.0:
	s_clause 0x2
	s_load_dwordx4 s[16:19], s[4:5], 0x18
	s_load_dwordx4 s[12:15], s[4:5], 0x0
	;; [unrolled: 1-line block ×3, first 2 shown]
	v_mul_u32_u24_e32 v2, 0x493, v0
	v_mov_b32_e32 v1, 0
	v_mov_b32_e32 v11, 0
	;; [unrolled: 1-line block ×3, first 2 shown]
	s_waitcnt lgkmcnt(0)
	s_load_dwordx2 s[20:21], s[16:17], 0x0
	s_load_dwordx2 s[2:3], s[18:19], 0x0
	v_cmp_lt_u64_e64 s0, s[14:15], 2
	v_add_nc_u32_sdwa v3, s6, v2 dst_sel:DWORD dst_unused:UNUSED_PAD src0_sel:DWORD src1_sel:WORD_1
	v_mov_b32_e32 v4, v1
	s_and_b32 vcc_lo, exec_lo, s0
	s_cbranch_vccnz .LBB0_8
; %bb.1:
	s_load_dwordx2 s[0:1], s[4:5], 0x10
	v_mov_b32_e32 v11, 0
	v_mov_b32_e32 v12, 0
	s_add_u32 s6, s18, 8
	s_addc_u32 s7, s19, 0
	s_add_u32 s22, s16, 8
	s_addc_u32 s23, s17, 0
	v_mov_b32_e32 v17, v12
	v_mov_b32_e32 v16, v11
	s_mov_b64 s[26:27], 1
	s_waitcnt lgkmcnt(0)
	s_add_u32 s24, s0, 8
	s_addc_u32 s25, s1, 0
.LBB0_2:                                ; =>This Inner Loop Header: Depth=1
	s_load_dwordx2 s[28:29], s[24:25], 0x0
                                        ; implicit-def: $vgpr18_vgpr19
	s_mov_b32 s0, exec_lo
	s_waitcnt lgkmcnt(0)
	v_or_b32_e32 v2, s29, v4
	v_cmpx_ne_u64_e32 0, v[1:2]
	s_xor_b32 s1, exec_lo, s0
	s_cbranch_execz .LBB0_4
; %bb.3:                                ;   in Loop: Header=BB0_2 Depth=1
	v_cvt_f32_u32_e32 v2, s28
	v_cvt_f32_u32_e32 v5, s29
	s_sub_u32 s0, 0, s28
	s_subb_u32 s30, 0, s29
	v_fmac_f32_e32 v2, 0x4f800000, v5
	v_rcp_f32_e32 v2, v2
	v_mul_f32_e32 v2, 0x5f7ffffc, v2
	v_mul_f32_e32 v5, 0x2f800000, v2
	v_trunc_f32_e32 v5, v5
	v_fmac_f32_e32 v2, 0xcf800000, v5
	v_cvt_u32_f32_e32 v5, v5
	v_cvt_u32_f32_e32 v2, v2
	v_mul_lo_u32 v6, s0, v5
	v_mul_hi_u32 v7, s0, v2
	v_mul_lo_u32 v8, s30, v2
	v_add_nc_u32_e32 v6, v7, v6
	v_mul_lo_u32 v7, s0, v2
	v_add_nc_u32_e32 v6, v6, v8
	v_mul_hi_u32 v8, v2, v7
	v_mul_lo_u32 v9, v2, v6
	v_mul_hi_u32 v10, v2, v6
	v_mul_hi_u32 v13, v5, v7
	v_mul_lo_u32 v7, v5, v7
	v_mul_hi_u32 v14, v5, v6
	v_mul_lo_u32 v6, v5, v6
	v_add_co_u32 v8, vcc_lo, v8, v9
	v_add_co_ci_u32_e32 v9, vcc_lo, 0, v10, vcc_lo
	v_add_co_u32 v7, vcc_lo, v8, v7
	v_add_co_ci_u32_e32 v7, vcc_lo, v9, v13, vcc_lo
	v_add_co_ci_u32_e32 v8, vcc_lo, 0, v14, vcc_lo
	v_add_co_u32 v6, vcc_lo, v7, v6
	v_add_co_ci_u32_e32 v7, vcc_lo, 0, v8, vcc_lo
	v_add_co_u32 v2, vcc_lo, v2, v6
	v_add_co_ci_u32_e32 v5, vcc_lo, v5, v7, vcc_lo
	v_mul_hi_u32 v6, s0, v2
	v_mul_lo_u32 v8, s30, v2
	v_mul_lo_u32 v7, s0, v5
	v_add_nc_u32_e32 v6, v6, v7
	v_mul_lo_u32 v7, s0, v2
	v_add_nc_u32_e32 v6, v6, v8
	v_mul_hi_u32 v8, v2, v7
	v_mul_lo_u32 v9, v2, v6
	v_mul_hi_u32 v10, v2, v6
	v_mul_hi_u32 v13, v5, v7
	v_mul_lo_u32 v7, v5, v7
	v_mul_hi_u32 v14, v5, v6
	v_mul_lo_u32 v6, v5, v6
	v_add_co_u32 v8, vcc_lo, v8, v9
	v_add_co_ci_u32_e32 v9, vcc_lo, 0, v10, vcc_lo
	v_add_co_u32 v7, vcc_lo, v8, v7
	v_add_co_ci_u32_e32 v7, vcc_lo, v9, v13, vcc_lo
	v_add_co_ci_u32_e32 v8, vcc_lo, 0, v14, vcc_lo
	v_add_co_u32 v6, vcc_lo, v7, v6
	v_add_co_ci_u32_e32 v7, vcc_lo, 0, v8, vcc_lo
	v_add_co_u32 v2, vcc_lo, v2, v6
	v_add_co_ci_u32_e32 v9, vcc_lo, v5, v7, vcc_lo
	v_mul_hi_u32 v13, v3, v2
	v_mad_u64_u32 v[7:8], null, v4, v2, 0
	v_mad_u64_u32 v[5:6], null, v3, v9, 0
	v_mad_u64_u32 v[9:10], null, v4, v9, 0
	v_add_co_u32 v2, vcc_lo, v13, v5
	v_add_co_ci_u32_e32 v5, vcc_lo, 0, v6, vcc_lo
	v_add_co_u32 v2, vcc_lo, v2, v7
	v_add_co_ci_u32_e32 v2, vcc_lo, v5, v8, vcc_lo
	v_add_co_ci_u32_e32 v5, vcc_lo, 0, v10, vcc_lo
	v_add_co_u32 v2, vcc_lo, v2, v9
	v_add_co_ci_u32_e32 v7, vcc_lo, 0, v5, vcc_lo
	v_mul_lo_u32 v8, s29, v2
	v_mad_u64_u32 v[5:6], null, s28, v2, 0
	v_mul_lo_u32 v9, s28, v7
	v_sub_co_u32 v5, vcc_lo, v3, v5
	v_add3_u32 v6, v6, v9, v8
	v_sub_nc_u32_e32 v8, v4, v6
	v_subrev_co_ci_u32_e64 v8, s0, s29, v8, vcc_lo
	v_add_co_u32 v9, s0, v2, 2
	v_add_co_ci_u32_e64 v10, s0, 0, v7, s0
	v_sub_co_u32 v13, s0, v5, s28
	v_sub_co_ci_u32_e32 v6, vcc_lo, v4, v6, vcc_lo
	v_subrev_co_ci_u32_e64 v8, s0, 0, v8, s0
	v_cmp_le_u32_e32 vcc_lo, s28, v13
	v_cmp_eq_u32_e64 s0, s29, v6
	v_cndmask_b32_e64 v13, 0, -1, vcc_lo
	v_cmp_le_u32_e32 vcc_lo, s29, v8
	v_cndmask_b32_e64 v14, 0, -1, vcc_lo
	v_cmp_le_u32_e32 vcc_lo, s28, v5
	;; [unrolled: 2-line block ×3, first 2 shown]
	v_cndmask_b32_e64 v15, 0, -1, vcc_lo
	v_cmp_eq_u32_e32 vcc_lo, s29, v8
	v_cndmask_b32_e64 v5, v15, v5, s0
	v_cndmask_b32_e32 v8, v14, v13, vcc_lo
	v_add_co_u32 v13, vcc_lo, v2, 1
	v_add_co_ci_u32_e32 v14, vcc_lo, 0, v7, vcc_lo
	v_cmp_ne_u32_e32 vcc_lo, 0, v8
	v_cndmask_b32_e32 v6, v14, v10, vcc_lo
	v_cndmask_b32_e32 v8, v13, v9, vcc_lo
	v_cmp_ne_u32_e32 vcc_lo, 0, v5
	v_cndmask_b32_e32 v19, v7, v6, vcc_lo
	v_cndmask_b32_e32 v18, v2, v8, vcc_lo
.LBB0_4:                                ;   in Loop: Header=BB0_2 Depth=1
	s_andn2_saveexec_b32 s0, s1
	s_cbranch_execz .LBB0_6
; %bb.5:                                ;   in Loop: Header=BB0_2 Depth=1
	v_cvt_f32_u32_e32 v2, s28
	s_sub_i32 s1, 0, s28
	v_mov_b32_e32 v19, v1
	v_rcp_iflag_f32_e32 v2, v2
	v_mul_f32_e32 v2, 0x4f7ffffe, v2
	v_cvt_u32_f32_e32 v2, v2
	v_mul_lo_u32 v5, s1, v2
	v_mul_hi_u32 v5, v2, v5
	v_add_nc_u32_e32 v2, v2, v5
	v_mul_hi_u32 v2, v3, v2
	v_mul_lo_u32 v5, v2, s28
	v_add_nc_u32_e32 v6, 1, v2
	v_sub_nc_u32_e32 v5, v3, v5
	v_subrev_nc_u32_e32 v7, s28, v5
	v_cmp_le_u32_e32 vcc_lo, s28, v5
	v_cndmask_b32_e32 v5, v5, v7, vcc_lo
	v_cndmask_b32_e32 v2, v2, v6, vcc_lo
	v_cmp_le_u32_e32 vcc_lo, s28, v5
	v_add_nc_u32_e32 v6, 1, v2
	v_cndmask_b32_e32 v18, v2, v6, vcc_lo
.LBB0_6:                                ;   in Loop: Header=BB0_2 Depth=1
	s_or_b32 exec_lo, exec_lo, s0
	v_mul_lo_u32 v2, v19, s28
	v_mul_lo_u32 v7, v18, s29
	s_load_dwordx2 s[0:1], s[22:23], 0x0
	v_mad_u64_u32 v[5:6], null, v18, s28, 0
	s_load_dwordx2 s[28:29], s[6:7], 0x0
	s_add_u32 s26, s26, 1
	s_addc_u32 s27, s27, 0
	s_add_u32 s6, s6, 8
	s_addc_u32 s7, s7, 0
	s_add_u32 s22, s22, 8
	v_add3_u32 v2, v6, v7, v2
	v_sub_co_u32 v3, vcc_lo, v3, v5
	s_addc_u32 s23, s23, 0
	s_add_u32 s24, s24, 8
	v_sub_co_ci_u32_e32 v2, vcc_lo, v4, v2, vcc_lo
	s_addc_u32 s25, s25, 0
	s_waitcnt lgkmcnt(0)
	v_mul_lo_u32 v4, s0, v2
	v_mul_lo_u32 v5, s1, v3
	v_mad_u64_u32 v[11:12], null, s0, v3, v[11:12]
	v_mul_lo_u32 v2, s28, v2
	v_mul_lo_u32 v6, s29, v3
	v_mad_u64_u32 v[16:17], null, s28, v3, v[16:17]
	v_cmp_ge_u64_e64 s0, s[26:27], s[14:15]
	v_add3_u32 v12, v5, v12, v4
	v_add3_u32 v17, v6, v17, v2
	s_and_b32 vcc_lo, exec_lo, s0
	s_cbranch_vccnz .LBB0_9
; %bb.7:                                ;   in Loop: Header=BB0_2 Depth=1
	v_mov_b32_e32 v3, v18
	v_mov_b32_e32 v4, v19
	s_branch .LBB0_2
.LBB0_8:
	v_mov_b32_e32 v17, v12
	v_mov_b32_e32 v19, v4
	;; [unrolled: 1-line block ×4, first 2 shown]
.LBB0_9:
	s_load_dwordx2 s[0:1], s[4:5], 0x28
	v_mul_hi_u32 v3, 0x4924925, v0
	s_lshl_b64 s[6:7], s[14:15], 3
                                        ; implicit-def: $sgpr14
                                        ; implicit-def: $vgpr92
                                        ; implicit-def: $vgpr93
                                        ; implicit-def: $vgpr94
                                        ; implicit-def: $vgpr95
                                        ; implicit-def: $vgpr96
                                        ; implicit-def: $vgpr98
                                        ; implicit-def: $vgpr100
                                        ; implicit-def: $vgpr79
                                        ; implicit-def: $vgpr80
	s_add_u32 s4, s18, s6
	s_addc_u32 s5, s19, s7
	s_waitcnt lgkmcnt(0)
	v_cmp_gt_u64_e32 vcc_lo, s[0:1], v[18:19]
	v_cmp_le_u64_e64 s0, s[0:1], v[18:19]
	s_and_saveexec_b32 s1, s0
	s_xor_b32 s0, exec_lo, s1
; %bb.10:
	v_mul_u32_u24_e32 v1, 56, v3
	s_mov_b32 s14, 0
                                        ; implicit-def: $vgpr3
                                        ; implicit-def: $vgpr11_vgpr12
	v_sub_nc_u32_e32 v92, v0, v1
                                        ; implicit-def: $vgpr0
	v_add_nc_u32_e32 v93, 56, v92
	v_add_nc_u32_e32 v94, 0x70, v92
	v_add_nc_u32_e32 v95, 0xa8, v92
	v_add_nc_u32_e32 v96, 0xe0, v92
	v_add_nc_u32_e32 v98, 0x118, v92
	v_add_nc_u32_e32 v100, 0x150, v92
	v_add_nc_u32_e32 v79, 0x188, v92
	v_or_b32_e32 v80, 0x1c0, v92
; %bb.11:
	s_or_saveexec_b32 s1, s0
	s_load_dwordx2 s[4:5], s[4:5], 0x0
	v_mov_b32_e32 v2, s14
	v_mov_b32_e32 v1, s14
	;; [unrolled: 1-line block ×4, first 2 shown]
                                        ; implicit-def: $vgpr21
                                        ; implicit-def: $vgpr28
                                        ; implicit-def: $vgpr32
                                        ; implicit-def: $vgpr24
                                        ; implicit-def: $vgpr26
                                        ; implicit-def: $vgpr30
                                        ; implicit-def: $vgpr76
                                        ; implicit-def: $vgpr4
                                        ; implicit-def: $vgpr8
                                        ; implicit-def: $vgpr50
                                        ; implicit-def: $vgpr44
                                        ; implicit-def: $vgpr10
                                        ; implicit-def: $vgpr52
                                        ; implicit-def: $vgpr58
                                        ; implicit-def: $vgpr40
                                        ; implicit-def: $vgpr15
                                        ; implicit-def: $vgpr66
                                        ; implicit-def: $vgpr62
                                        ; implicit-def: $vgpr13
                                        ; implicit-def: $vgpr70
                                        ; implicit-def: $vgpr60
                                        ; implicit-def: $vgpr38
                                        ; implicit-def: $vgpr48
                                        ; implicit-def: $vgpr72
                                        ; implicit-def: $vgpr64
                                        ; implicit-def: $vgpr54
                                        ; implicit-def: $vgpr56
                                        ; implicit-def: $vgpr68
                                        ; implicit-def: $vgpr74
                                        ; implicit-def: $vgpr46
                                        ; implicit-def: $vgpr34
                                        ; implicit-def: $vgpr36
                                        ; implicit-def: $vgpr42
                                        ; implicit-def: $vgpr78
	s_xor_b32 exec_lo, exec_lo, s1
	s_cbranch_execz .LBB0_15
; %bb.12:
	s_add_u32 s6, s16, s6
	s_addc_u32 s7, s17, s7
	v_mul_u32_u24_e32 v1, 56, v3
	s_load_dwordx2 s[6:7], s[6:7], 0x0
	v_lshlrev_b64 v[2:3], 3, v[11:12]
	v_sub_nc_u32_e32 v92, v0, v1
	v_add_nc_u32_e32 v14, 0x1ea, v92
	v_add_nc_u32_e32 v22, 0x3d4, v92
	v_mad_u64_u32 v[0:1], null, s20, v92, 0
	v_add_nc_u32_e32 v23, 0x5be, v92
	v_mad_u64_u32 v[4:5], null, s20, v14, 0
	v_mad_u64_u32 v[6:7], null, s20, v22, 0
	;; [unrolled: 1-line block ×3, first 2 shown]
	s_waitcnt lgkmcnt(0)
	v_mul_lo_u32 v15, s7, v18
	v_mul_lo_u32 v20, s6, v19
	v_mad_u64_u32 v[8:9], null, s6, v18, 0
	v_mad_u64_u32 v[10:11], null, s21, v92, v[1:2]
	v_mov_b32_e32 v1, v5
	v_mov_b32_e32 v5, v7
	v_add_nc_u32_e32 v93, 56, v92
	v_add_nc_u32_e32 v25, 0x5f6, v92
	v_add3_u32 v9, v9, v20, v15
	v_mad_u64_u32 v[14:15], null, s21, v14, v[1:2]
	v_mov_b32_e32 v1, v10
	v_mad_u64_u32 v[20:21], null, s20, v93, 0
	v_lshlrev_b64 v[7:8], 3, v[8:9]
	v_mad_u64_u32 v[9:10], null, s21, v22, v[5:6]
	v_mov_b32_e32 v10, v13
	v_mov_b32_e32 v5, v14
	v_lshlrev_b64 v[0:1], 3, v[0:1]
	v_add_co_u32 v11, s0, s8, v7
	v_add_co_ci_u32_e64 v8, s0, s9, v8, s0
	v_mov_b32_e32 v7, v9
	v_add_co_u32 v11, s0, v11, v2
	v_add_co_ci_u32_e64 v22, s0, v8, v3, s0
	v_lshlrev_b64 v[2:3], 3, v[4:5]
	v_mad_u64_u32 v[4:5], null, s21, v23, v[10:11]
	v_add_nc_u32_e32 v10, 0x222, v92
	v_lshlrev_b64 v[5:6], 3, v[6:7]
	v_mov_b32_e32 v7, v21
	v_add_co_u32 v0, s0, v11, v0
	v_mad_u64_u32 v[8:9], null, s20, v10, 0
	v_add_co_ci_u32_e64 v1, s0, v22, v1, s0
	v_add_co_u32 v2, s0, v11, v2
	v_mov_b32_e32 v13, v4
	v_add_nc_u32_e32 v23, 0x40c, v92
	v_mad_u64_u32 v[14:15], null, s21, v93, v[7:8]
	v_add_co_ci_u32_e64 v3, s0, v22, v3, s0
	v_add_co_u32 v4, s0, v11, v5
	v_add_co_ci_u32_e64 v5, s0, v22, v6, s0
	v_lshlrev_b64 v[6:7], 3, v[12:13]
	v_mad_u64_u32 v[12:13], null, s20, v23, 0
	v_mov_b32_e32 v21, v14
	v_mad_u64_u32 v[9:10], null, s21, v10, v[9:10]
	v_add_nc_u32_e32 v94, 0x70, v92
	v_add_nc_u32_e32 v29, 0x25a, v92
	v_lshlrev_b64 v[14:15], 3, v[20:21]
	v_mad_u64_u32 v[20:21], null, s20, v25, 0
	v_mov_b32_e32 v10, v13
	v_add_co_u32 v6, s0, v11, v6
	v_lshlrev_b64 v[8:9], 3, v[8:9]
	v_add_co_ci_u32_e64 v7, s0, v22, v7, s0
	v_mad_u64_u32 v[23:24], null, s21, v23, v[10:11]
	v_mov_b32_e32 v10, v21
	v_add_co_u32 v14, s0, v11, v14
	v_add_nc_u32_e32 v31, 0x444, v92
	v_add_co_ci_u32_e64 v15, s0, v22, v15, s0
	v_mad_u64_u32 v[25:26], null, s21, v25, v[10:11]
	v_mov_b32_e32 v13, v23
	v_mad_u64_u32 v[23:24], null, s20, v94, 0
	v_add_co_u32 v8, s0, v11, v8
	v_lshlrev_b64 v[12:13], 3, v[12:13]
	v_mov_b32_e32 v21, v25
	v_mad_u64_u32 v[25:26], null, s20, v29, 0
	v_mov_b32_e32 v10, v24
	v_add_co_ci_u32_e64 v9, s0, v22, v9, s0
	v_lshlrev_b64 v[20:21], 3, v[20:21]
	v_add_co_u32 v12, s0, v11, v12
	v_mad_u64_u32 v[27:28], null, s21, v94, v[10:11]
	v_mov_b32_e32 v10, v26
	v_add_co_ci_u32_e64 v13, s0, v22, v13, s0
	v_add_co_u32 v33, s0, v11, v20
	v_mad_u64_u32 v[29:30], null, s21, v29, v[10:11]
	v_mov_b32_e32 v24, v27
	v_mad_u64_u32 v[27:28], null, s20, v31, 0
	v_add_nc_u32_e32 v30, 0x62e, v92
	v_add_co_ci_u32_e64 v34, s0, v22, v21, s0
	v_lshlrev_b64 v[20:21], 3, v[23:24]
	v_mov_b32_e32 v26, v29
	v_mad_u64_u32 v[23:24], null, s20, v30, 0
	v_mov_b32_e32 v10, v28
	v_add_nc_u32_e32 v95, 0xa8, v92
	v_add_co_u32 v35, s0, v11, v20
	v_add_co_ci_u32_e64 v36, s0, v22, v21, s0
	v_mad_u64_u32 v[28:29], null, s21, v31, v[10:11]
	v_lshlrev_b64 v[20:21], 3, v[25:26]
	v_mov_b32_e32 v10, v24
	v_mad_u64_u32 v[25:26], null, s20, v95, 0
	v_add_nc_u32_e32 v31, 0x292, v92
	v_add_nc_u32_e32 v96, 0xe0, v92
	v_mad_u64_u32 v[29:30], null, s21, v30, v[10:11]
	v_add_co_u32 v37, s0, v11, v20
	v_add_co_ci_u32_e64 v38, s0, v22, v21, s0
	v_lshlrev_b64 v[20:21], 3, v[27:28]
	v_mov_b32_e32 v10, v26
	v_mad_u64_u32 v[27:28], null, s20, v31, 0
	v_mov_b32_e32 v24, v29
	v_add_nc_u32_e32 v43, 0x2ca, v92
	v_mad_u64_u32 v[29:30], null, s21, v95, v[10:11]
	v_add_co_u32 v39, s0, v11, v20
	v_add_nc_u32_e32 v30, 0x47c, v92
	v_mov_b32_e32 v10, v28
	v_add_co_ci_u32_e64 v40, s0, v22, v21, s0
	v_lshlrev_b64 v[20:21], 3, v[23:24]
	v_mov_b32_e32 v26, v29
	v_mad_u64_u32 v[23:24], null, s20, v30, 0
	v_mad_u64_u32 v[28:29], null, s21, v31, v[10:11]
	v_add_nc_u32_e32 v31, 0x666, v92
	v_add_co_u32 v41, s0, v11, v20
	v_add_co_ci_u32_e64 v42, s0, v22, v21, s0
	v_lshlrev_b64 v[20:21], 3, v[25:26]
	v_mad_u64_u32 v[25:26], null, s20, v31, 0
	v_mov_b32_e32 v10, v24
	v_add_nc_u32_e32 v44, 0x4b4, v92
	v_add_nc_u32_e32 v49, 0x69e, v92
	v_add_co_u32 v45, s0, v11, v20
	v_mad_u64_u32 v[29:30], null, s21, v30, v[10:11]
	v_mov_b32_e32 v10, v26
	v_add_co_ci_u32_e64 v46, s0, v22, v21, s0
	v_lshlrev_b64 v[20:21], 3, v[27:28]
	v_add_nc_u32_e32 v98, 0x118, v92
	v_mad_u64_u32 v[26:27], null, s21, v31, v[10:11]
	v_mad_u64_u32 v[27:28], null, s20, v96, 0
	v_mov_b32_e32 v24, v29
	v_mad_u64_u32 v[29:30], null, s20, v43, 0
	v_add_co_u32 v47, s0, v11, v20
	v_add_co_ci_u32_e64 v48, s0, v22, v21, s0
	v_mov_b32_e32 v10, v28
	v_lshlrev_b64 v[20:21], 3, v[23:24]
	v_mov_b32_e32 v23, v30
	v_add_nc_u32_e32 v51, 0x6d6, v92
	v_add_nc_u32_e32 v100, 0x150, v92
	v_mad_u64_u32 v[30:31], null, s21, v96, v[10:11]
	v_mad_u64_u32 v[31:32], null, s20, v44, 0
	;; [unrolled: 1-line block ×3, first 2 shown]
	v_add_co_u32 v53, s0, v11, v20
	v_mov_b32_e32 v28, v30
	v_add_co_ci_u32_e64 v54, s0, v22, v21, s0
	v_mov_b32_e32 v10, v32
	v_mov_b32_e32 v30, v23
	v_lshlrev_b64 v[20:21], 3, v[25:26]
	v_add_nc_u32_e32 v79, 0x188, v92
	s_mov_b32 s6, exec_lo
	v_mad_u64_u32 v[23:24], null, s21, v44, v[10:11]
	v_mad_u64_u32 v[24:25], null, s20, v49, 0
	;; [unrolled: 1-line block ×3, first 2 shown]
	v_add_co_u32 v55, s0, v11, v20
	v_add_co_ci_u32_e64 v56, s0, v22, v21, s0
	v_mov_b32_e32 v10, v25
	v_lshlrev_b64 v[20:21], 3, v[27:28]
	v_lshlrev_b64 v[25:26], 3, v[29:30]
	v_mov_b32_e32 v27, v44
	v_mov_b32_e32 v32, v23
	v_mad_u64_u32 v[28:29], null, s21, v49, v[10:11]
	v_add_co_u32 v59, s0, v11, v20
	v_add_co_ci_u32_e64 v60, s0, v22, v21, s0
	v_lshlrev_b64 v[20:21], 3, v[31:32]
	v_add_nc_u32_e32 v32, 0x302, v92
	v_mad_u64_u32 v[29:30], null, s21, v98, v[27:28]
	v_add_nc_u32_e32 v49, 0x4ec, v92
	v_add_co_u32 v61, s0, v11, v25
	v_add_co_ci_u32_e64 v62, s0, v22, v26, s0
	v_mov_b32_e32 v25, v28
	v_mov_b32_e32 v44, v29
	v_mad_u64_u32 v[26:27], null, s20, v32, 0
	v_mad_u64_u32 v[28:29], null, s20, v49, 0
	v_add_co_u32 v63, s0, v11, v20
	v_add_co_ci_u32_e64 v64, s0, v22, v21, s0
	v_lshlrev_b64 v[20:21], 3, v[24:25]
	v_mov_b32_e32 v10, v27
	v_mov_b32_e32 v25, v29
	v_mad_u64_u32 v[30:31], null, s20, v51, 0
	v_lshlrev_b64 v[23:24], 3, v[43:44]
	v_mad_u64_u32 v[43:44], null, s21, v32, v[10:11]
	v_mad_u64_u32 v[49:50], null, s21, v49, v[25:26]
	v_add_co_u32 v67, s0, v11, v20
	v_mov_b32_e32 v10, v31
	v_add_co_ci_u32_e64 v68, s0, v22, v21, s0
	v_mov_b32_e32 v27, v43
	v_mov_b32_e32 v29, v49
	v_mad_u64_u32 v[20:21], null, s21, v51, v[10:11]
	v_add_co_u32 v69, s0, v11, v23
	v_add_co_ci_u32_e64 v70, s0, v22, v24, s0
	v_lshlrev_b64 v[23:24], 3, v[26:27]
	v_lshlrev_b64 v[25:26], 3, v[28:29]
	v_mad_u64_u32 v[27:28], null, s20, v100, 0
	v_add_nc_u32_e32 v32, 0x33a, v92
	v_mov_b32_e32 v31, v20
	v_add_co_u32 v71, s0, v11, v23
	v_add_co_ci_u32_e64 v72, s0, v22, v24, s0
	v_mad_u64_u32 v[43:44], null, s20, v32, 0
	v_mov_b32_e32 v10, v28
	v_lshlrev_b64 v[20:21], 3, v[30:31]
	v_add_nc_u32_e32 v31, 0x524, v92
	v_add_co_u32 v73, s0, v11, v25
	v_mad_u64_u32 v[28:29], null, s21, v100, v[10:11]
	v_mov_b32_e32 v23, v44
	v_mad_u64_u32 v[29:30], null, s20, v31, 0
	v_add_co_ci_u32_e64 v74, s0, v22, v26, s0
	v_mad_u64_u32 v[23:24], null, s21, v32, v[23:24]
	v_add_nc_u32_e32 v32, 0x70e, v92
	v_add_co_u32 v80, s0, v11, v20
	v_mov_b32_e32 v10, v30
	v_add_co_ci_u32_e64 v81, s0, v22, v21, s0
	v_lshlrev_b64 v[20:21], 3, v[27:28]
	v_mov_b32_e32 v44, v23
	v_mad_u64_u32 v[23:24], null, s21, v31, v[10:11]
	v_mad_u64_u32 v[24:25], null, s20, v32, 0
	v_add_nc_u32_e32 v49, 0x372, v92
	v_add_co_u32 v82, s0, v11, v20
	v_mad_u64_u32 v[26:27], null, s20, v79, 0
	v_add_co_ci_u32_e64 v83, s0, v22, v21, s0
	v_lshlrev_b64 v[20:21], 3, v[43:44]
	v_mad_u64_u32 v[43:44], null, s20, v49, 0
	v_mov_b32_e32 v10, v25
	v_mov_b32_e32 v30, v23
	v_add_nc_u32_e32 v50, 0x55c, v92
	v_add_co_u32 v84, s0, v11, v20
	v_mad_u64_u32 v[31:32], null, s21, v32, v[10:11]
	v_mov_b32_e32 v10, v27
	v_mov_b32_e32 v23, v44
	v_add_nc_u32_e32 v51, 0x746, v92
	v_add_co_ci_u32_e64 v85, s0, v22, v21, s0
	v_mad_u64_u32 v[27:28], null, s21, v79, v[10:11]
	v_lshlrev_b64 v[20:21], 3, v[29:30]
	v_mad_u64_u32 v[28:29], null, s21, v49, v[23:24]
	v_mad_u64_u32 v[29:30], null, s20, v50, 0
	v_mov_b32_e32 v25, v31
	v_mad_u64_u32 v[31:32], null, s20, v51, 0
	v_add_co_u32 v86, s0, v11, v20
	v_add_co_ci_u32_e64 v87, s0, v22, v21, s0
	v_mov_b32_e32 v10, v30
	v_lshlrev_b64 v[20:21], 3, v[24:25]
	v_lshlrev_b64 v[24:25], 3, v[26:27]
	v_mov_b32_e32 v23, v32
	v_mov_b32_e32 v44, v28
	v_mad_u64_u32 v[26:27], null, s21, v50, v[10:11]
	v_add_co_u32 v88, s0, v11, v20
	v_mad_u64_u32 v[27:28], null, s21, v51, v[23:24]
	v_add_co_ci_u32_e64 v89, s0, v22, v21, s0
	v_lshlrev_b64 v[20:21], 3, v[43:44]
	v_mov_b32_e32 v30, v26
	v_add_co_u32 v90, s0, v11, v24
	v_mov_b32_e32 v32, v27
	v_add_co_ci_u32_e64 v91, s0, v22, v25, s0
	v_lshlrev_b64 v[23:24], 3, v[29:30]
	v_add_co_u32 v101, s0, v11, v20
	v_add_co_ci_u32_e64 v102, s0, v22, v21, s0
	v_lshlrev_b64 v[20:21], 3, v[31:32]
	v_add_co_u32 v103, s0, v11, v23
	v_add_co_ci_u32_e64 v104, s0, v22, v24, s0
	v_add_co_u32 v105, s0, v11, v20
	v_add_co_ci_u32_e64 v106, s0, v22, v21, s0
	s_clause 0x1f
	global_load_dwordx2 v[20:21], v[0:1], off
	global_load_dwordx2 v[27:28], v[2:3], off
	;; [unrolled: 1-line block ×32, first 2 shown]
	v_or_b32_e32 v80, 0x1c0, v92
	v_mov_b32_e32 v5, 0
	v_mov_b32_e32 v6, 0
	;; [unrolled: 1-line block ×4, first 2 shown]
                                        ; implicit-def: $vgpr45
                                        ; implicit-def: $vgpr73
	v_cmpx_gt_u32_e32 0x1ea, v80
	s_cbranch_execz .LBB0_14
; %bb.13:
	v_add_nc_u32_e32 v83, 0x3aa, v92
	v_add_nc_u32_e32 v84, 0x594, v92
	;; [unrolled: 1-line block ×3, first 2 shown]
	v_mad_u64_u32 v[0:1], null, s20, v80, 0
	v_mad_u64_u32 v[5:6], null, s20, v83, 0
	;; [unrolled: 1-line block ×4, first 2 shown]
	v_mov_b32_e32 v2, v6
	v_mov_b32_e32 v6, v74
	v_mad_u64_u32 v[81:82], null, s21, v80, v[1:2]
	v_mov_b32_e32 v1, v46
	s_waitcnt vmcnt(23)
	v_mad_u64_u32 v[82:83], null, s21, v83, v[2:3]
	v_mad_u64_u32 v[83:84], null, s21, v84, v[1:2]
	v_mov_b32_e32 v1, v81
	s_waitcnt vmcnt(22)
	v_mad_u64_u32 v[84:85], null, s21, v85, v[6:7]
	v_mov_b32_e32 v6, v82
	v_lshlrev_b64 v[0:1], 3, v[0:1]
	v_mov_b32_e32 v46, v83
	v_lshlrev_b64 v[5:6], 3, v[5:6]
	;; [unrolled: 2-line block ×3, first 2 shown]
	v_add_co_u32 v0, s0, v11, v0
	v_add_co_ci_u32_e64 v1, s0, v22, v1, s0
	v_add_co_u32 v5, s0, v11, v5
	v_lshlrev_b64 v[73:74], 3, v[73:74]
	v_add_co_ci_u32_e64 v6, s0, v22, v6, s0
	v_add_co_u32 v45, s0, v11, v45
	v_add_co_ci_u32_e64 v46, s0, v22, v46, s0
	v_add_co_u32 v81, s0, v11, v73
	v_add_co_ci_u32_e64 v82, s0, v22, v74, s0
	s_clause 0x3
	global_load_dwordx2 v[1:2], v[0:1], off
	global_load_dwordx2 v[5:6], v[5:6], off
	global_load_dwordx2 v[73:74], v[45:46], off
	global_load_dwordx2 v[45:46], v[81:82], off
.LBB0_14:
	s_or_b32 exec_lo, exec_lo, s6
.LBB0_15:
	s_or_b32 exec_lo, exec_lo, s1
	s_waitcnt vmcnt(29)
	v_sub_f32_e32 v11, v20, v31
	s_waitcnt vmcnt(28)
	v_sub_f32_e32 v22, v27, v77
	v_sub_f32_e32 v31, v28, v78
	s_waitcnt vmcnt(25)
	v_sub_f32_e32 v29, v23, v29
	s_waitcnt vmcnt(24)
	v_sub_f32_e32 v0, v25, v75
	v_fma_f32 v20, v20, 2.0, -v11
	v_fma_f32 v27, v27, 2.0, -v22
	v_sub_f32_e32 v78, v11, v31
	v_fma_f32 v23, v23, 2.0, -v29
	v_fma_f32 v75, v25, 2.0, -v0
	v_sub_f32_e32 v25, v26, v76
	v_sub_f32_e32 v77, v20, v27
	v_fma_f32 v82, v11, 2.0, -v78
	s_waitcnt vmcnt(21)
	v_sub_f32_e32 v11, v3, v49
	v_sub_f32_e32 v83, v23, v75
	s_waitcnt vmcnt(20)
	v_sub_f32_e32 v75, v7, v43
	v_lshl_add_u32 v89, v92, 4, 0
	v_fma_f32 v81, v20, 2.0, -v77
	v_sub_f32_e32 v84, v29, v25
	v_fma_f32 v3, v3, 2.0, -v11
	v_fma_f32 v20, v7, 2.0, -v75
	v_sub_f32_e32 v104, v8, v44
	v_fma_f32 v43, v23, 2.0, -v83
	ds_write2_b64 v89, v[81:82], v[77:78] offset1:1
	v_fma_f32 v44, v29, 2.0, -v84
	v_lshl_add_u32 v105, v93, 4, 0
	s_waitcnt vmcnt(17)
	v_sub_f32_e32 v23, v9, v57
	s_waitcnt vmcnt(16)
	v_sub_f32_e32 v7, v51, v39
	v_sub_f32_e32 v76, v3, v20
	;; [unrolled: 1-line block ×4, first 2 shown]
	ds_write2_b64 v105, v[43:44], v[83:84] offset1:1
	v_fma_f32 v9, v9, 2.0, -v23
	v_fma_f32 v20, v51, 2.0, -v7
	;; [unrolled: 1-line block ×4, first 2 shown]
	v_lshl_add_u32 v3, v94, 4, 0
	v_sub_f32_e32 v44, v23, v57
	s_waitcnt vmcnt(13)
	v_sub_f32_e32 v11, v14, v61
	s_waitcnt vmcnt(12)
	v_sub_f32_e32 v51, v65, v41
	v_sub_f32_e32 v43, v9, v20
	ds_write2_b64 v3, v[39:40], v[76:77] offset1:1
	v_fma_f32 v40, v23, 2.0, -v44
	v_fma_f32 v20, v14, 2.0, -v11
	;; [unrolled: 1-line block ×3, first 2 shown]
	v_sub_f32_e32 v61, v66, v42
	s_waitcnt vmcnt(9)
	v_sub_f32_e32 v27, v12, v59
	s_waitcnt vmcnt(8)
	v_sub_f32_e32 v14, v69, v37
	v_fma_f32 v39, v9, 2.0, -v43
	v_lshl_add_u32 v9, v95, 4, 0
	v_sub_f32_e32 v41, v20, v23
	v_sub_f32_e32 v42, v11, v61
	v_fma_f32 v12, v12, 2.0, -v27
	v_fma_f32 v23, v69, 2.0, -v14
	ds_write2_b64 v9, v[39:40], v[43:44] offset1:1
	v_sub_f32_e32 v106, v70, v38
	v_fma_f32 v40, v11, 2.0, -v42
	s_waitcnt vmcnt(5)
	v_sub_f32_e32 v11, v47, v63
	v_sub_f32_e32 v37, v12, v23
	s_waitcnt vmcnt(4)
	v_sub_f32_e32 v65, v71, v35
	v_fma_f32 v39, v20, 2.0, -v41
	v_sub_f32_e32 v38, v27, v106
	s_waitcnt vmcnt(1)
	v_sub_f32_e32 v23, v53, v67
	v_fma_f32 v35, v12, 2.0, -v37
	v_fma_f32 v12, v47, 2.0, -v11
	;; [unrolled: 1-line block ×3, first 2 shown]
	s_waitcnt vmcnt(0)
	v_sub_f32_e32 v69, v55, v33
	v_sub_f32_e32 v107, v72, v36
	v_fma_f32 v36, v27, 2.0, -v38
	v_fma_f32 v27, v53, 2.0, -v23
	v_sub_f32_e32 v43, v12, v20
	v_fma_f32 v20, v55, 2.0, -v69
	v_sub_f32_e32 v71, v56, v34
	v_sub_f32_e32 v55, v6, v46
	;; [unrolled: 1-line block ×3, first 2 shown]
	v_lshl_add_u32 v59, v96, 4, 0
	v_sub_f32_e32 v76, v27, v20
	v_sub_f32_e32 v20, v1, v73
	;; [unrolled: 1-line block ×3, first 2 shown]
	v_lshl_add_u32 v49, v98, 4, 0
	v_fma_f32 v33, v12, 2.0, -v43
	v_lshl_add_u32 v63, v100, 4, 0
	v_lshl_add_u32 v67, v79, 4, 0
	v_sub_f32_e32 v73, v5, v45
	v_sub_f32_e32 v12, v20, v55
	v_cmp_gt_u32_e64 s0, 42, v92
	v_lshl_add_u32 v53, v80, 4, 0
	v_fma_f32 v34, v11, 2.0, -v44
	v_fma_f32 v46, v27, 2.0, -v76
	;; [unrolled: 1-line block ×3, first 2 shown]
	ds_write2_b64 v59, v[39:40], v[41:42] offset1:1
	ds_write2_b64 v49, v[35:36], v[37:38] offset1:1
	;; [unrolled: 1-line block ×4, first 2 shown]
	s_and_saveexec_b32 s1, s0
	s_cbranch_execz .LBB0_17
; %bb.16:
	v_fma_f32 v1, v1, 2.0, -v20
	v_fma_f32 v5, v5, 2.0, -v73
	;; [unrolled: 1-line block ×3, first 2 shown]
	v_sub_f32_e32 v11, v1, v5
	v_fma_f32 v33, v1, 2.0, -v11
	ds_write2_b64 v53, v[33:34], v[11:12] offset1:1
.LBB0_17:
	s_or_b32 exec_lo, exec_lo, s1
	v_sub_f32_e32 v1, v21, v32
	v_fma_f32 v5, v28, 2.0, -v31
	v_lshl_add_u32 v97, v92, 2, 0
	v_mad_i32_i24 v20, v98, -12, v49
	v_lshl_add_u32 v102, v95, 2, 0
	v_fma_f32 v11, v21, 2.0, -v1
	v_add_f32_e32 v112, v1, v22
	v_add_nc_u32_e32 v81, 0x1400, v97
	v_add_nc_u32_e32 v78, 0x1800, v97
	;; [unrolled: 1-line block ×3, first 2 shown]
	v_sub_f32_e32 v111, v11, v5
	v_fma_f32 v114, v1, 2.0, -v112
	v_sub_f32_e32 v1, v24, v30
	v_fma_f32 v5, v26, 2.0, -v25
	v_add_nc_u32_e32 v77, 0x800, v97
	v_fma_f32 v113, v11, 2.0, -v111
	v_lshl_add_u32 v103, v96, 2, 0
	v_fma_f32 v11, v24, 2.0, -v1
	v_add_f32_e32 v116, v1, v0
	v_add_nc_u32_e32 v83, 0xe00, v97
	v_add_nc_u32_e32 v76, 0xc00, v97
	v_lshl_add_u32 v101, v94, 2, 0
	v_sub_f32_e32 v115, v11, v5
	v_fma_f32 v1, v1, 2.0, -v116
	v_add_nc_u32_e32 v109, 0x1200, v97
	v_lshl_add_u32 v99, v93, 2, 0
	v_add_nc_u32_e32 v110, 0x1c00, v97
	v_fma_f32 v0, v11, 2.0, -v115
	s_waitcnt lgkmcnt(0)
	s_barrier
	buffer_gl0_inv
	ds_read_b32 v84, v97
	ds_read_b32 v85, v102
	v_add_nc_u32_e32 v82, 0x1000, v97
	ds_read_b32 v91, v20
	ds_read_b32 v86, v103
	;; [unrolled: 1-line block ×4, first 2 shown]
	ds_read_b32 v90, v97 offset:7616
	ds_read2_b32 v[32:33], v77 offset0:48 offset1:104
	ds_read2_b32 v[22:23], v76 offset0:16 offset1:72
	;; [unrolled: 1-line block ×10, first 2 shown]
	ds_read2_b32 v[34:35], v110 offset1:56
	ds_read2_b32 v[30:31], v108 offset0:192 offset1:248
	ds_read2_b32 v[26:27], v83 offset0:112 offset1:168
	;; [unrolled: 1-line block ×3, first 2 shown]
	s_waitcnt lgkmcnt(0)
	s_barrier
	buffer_gl0_inv
	ds_write2_b64 v89, v[113:114], v[111:112] offset1:1
	ds_write2_b64 v105, v[0:1], v[115:116] offset1:1
	v_sub_f32_e32 v0, v4, v50
	v_sub_f32_e32 v50, v10, v58
	v_fma_f32 v1, v8, 2.0, -v104
	v_fma_f32 v8, v52, 2.0, -v57
	;; [unrolled: 1-line block ×5, first 2 shown]
	v_sub_f32_e32 v61, v15, v62
	v_add_f32_e32 v5, v0, v75
	v_add_f32_e32 v11, v50, v7
	v_sub_f32_e32 v4, v57, v1
	v_sub_f32_e32 v10, v58, v8
	v_fma_f32 v1, v15, 2.0, -v61
	v_fma_f32 v8, v0, 2.0, -v5
	v_sub_f32_e32 v0, v13, v60
	v_fma_f32 v7, v57, 2.0, -v4
	v_fma_f32 v57, v58, 2.0, -v10
	;; [unrolled: 1-line block ×3, first 2 shown]
	v_sub_f32_e32 v50, v1, v52
	v_sub_f32_e32 v15, v48, v64
	;; [unrolled: 1-line block ×3, first 2 shown]
	v_add_f32_e32 v105, v0, v14
	v_fma_f32 v66, v70, 2.0, -v106
	v_fma_f32 v60, v1, 2.0, -v50
	;; [unrolled: 1-line block ×8, first 2 shown]
	v_add_f32_e32 v65, v15, v65
	v_sub_f32_e32 v68, v14, v48
	v_sub_f32_e32 v0, v2, v74
	v_add_f32_e32 v51, v61, v51
	v_sub_f32_e32 v104, v13, v66
	v_sub_f32_e32 v64, v1, v72
	v_add_f32_e32 v69, v52, v69
	v_fma_f32 v75, v15, 2.0, -v65
	v_fma_f32 v106, v14, 2.0, -v68
	v_add_f32_e32 v14, v0, v73
	v_mul_i32_i24_e32 v15, -12, v98
	v_fma_f32 v61, v61, 2.0, -v51
	v_fma_f32 v70, v13, 2.0, -v104
	;; [unrolled: 1-line block ×4, first 2 shown]
	ds_write2_b64 v3, v[7:8], v[4:5] offset1:1
	ds_write2_b64 v9, v[57:58], v[10:11] offset1:1
	;; [unrolled: 1-line block ×6, first 2 shown]
	s_and_saveexec_b32 s1, s0
	s_cbranch_execz .LBB0_19
; %bb.18:
	v_fma_f32 v1, v2, 2.0, -v0
	v_fma_f32 v2, v6, 2.0, -v55
	v_sub_f32_e32 v13, v1, v2
	v_fma_f32 v2, v0, 2.0, -v14
	v_fma_f32 v1, v1, 2.0, -v13
	ds_write2_b64 v53, v[1:2], v[13:14] offset1:1
.LBB0_19:
	s_or_b32 exec_lo, exec_lo, s1
	v_and_b32_e32 v13, 3, v92
	s_waitcnt lgkmcnt(0)
	s_barrier
	buffer_gl0_inv
	v_add_nc_u32_e32 v104, v49, v15
	v_mul_u32_u24_e32 v0, 6, v13
	v_lshrrev_b32_e32 v106, 2, v93
	v_lshrrev_b32_e32 v107, 2, v94
	;; [unrolled: 1-line block ×3, first 2 shown]
	v_cmp_gt_u32_e64 s0, 28, v92
	v_lshlrev_b32_e32 v0, 3, v0
	v_mul_lo_u32 v106, v106, 28
	v_mul_lo_u32 v107, v107, 28
	v_mul_u32_u24_e32 v105, 28, v105
	s_clause 0x2
	global_load_dwordx4 v[8:11], v0, s[12:13]
	global_load_dwordx4 v[4:7], v0, s[12:13] offset:16
	global_load_dwordx4 v[0:3], v0, s[12:13] offset:32
	ds_read_b32 v89, v97
	ds_read2_b32 v[74:75], v77 offset0:48 offset1:104
	ds_read2_b32 v[50:51], v76 offset0:16 offset1:72
	;; [unrolled: 1-line block ×10, first 2 shown]
	ds_read2_b32 v[58:59], v110 offset1:56
	ds_read_b32 v15, v102
	ds_read2_b32 v[56:57], v108 offset0:192 offset1:248
	ds_read2_b32 v[54:55], v83 offset0:112 offset1:168
	;; [unrolled: 1-line block ×3, first 2 shown]
	v_lshrrev_b32_e32 v109, 2, v96
	ds_read_b32 v110, v104
	v_lshrrev_b32_e32 v108, 2, v95
	v_or_b32_e32 v106, v106, v13
	v_or_b32_e32 v114, v107, v13
	v_mul_lo_u32 v111, v109, 28
	ds_read_b32 v109, v103
	ds_read_b32 v120, v101
	;; [unrolled: 1-line block ×3, first 2 shown]
	ds_read_b32 v112, v97 offset:7616
	v_mul_lo_u32 v108, v108, 28
	v_or_b32_e32 v113, v105, v13
	v_lshl_add_u32 v123, v106, 2, 0
	v_lshl_add_u32 v122, v114, 2, 0
	s_waitcnt vmcnt(0) lgkmcnt(0)
	s_barrier
	v_lshl_add_u32 v107, v113, 2, 0
	buffer_gl0_inv
	v_or_b32_e32 v105, v108, v13
	v_or_b32_e32 v13, v111, v13
	v_mul_f32_e32 v106, v110, v9
	v_mul_f32_e32 v108, v74, v11
	;; [unrolled: 1-line block ×60, first 2 shown]
	v_fma_f32 v155, v32, v10, -v108
	v_fmac_f32_e32 v145, v73, v6
	v_fma_f32 v73, v46, v2, -v115
	v_fmac_f32_e32 v135, v59, v2
	;; [unrolled: 2-line block ×3, first 2 shown]
	v_fma_f32 v51, v21, v0, -v114
	v_fma_f32 v152, v33, v10, -v117
	v_fmac_f32_e32 v150, v74, v10
	v_fmac_f32_e32 v143, v75, v10
	v_fma_f32 v75, v28, v6, -v113
	v_fmac_f32_e32 v151, v72, v6
	v_fma_f32 v72, v47, v2, -v157
	;; [unrolled: 2-line block ×3, first 2 shown]
	v_fma_f32 v44, v45, v8, -v158
	v_fma_f32 v45, v43, v4, -v160
	v_fmac_f32_e32 v142, v66, v4
	v_fma_f32 v66, v40, v0, -v156
	v_fma_f32 v46, v41, v0, -v162
	;; [unrolled: 1-line block ×3, first 2 shown]
	v_fmac_f32_e32 v138, v62, v10
	v_fma_f32 v62, v36, v6, -v161
	v_fmac_f32_e32 v139, v60, v6
	v_fma_f32 v60, v34, v2, -v163
	;; [unrolled: 2-line block ×3, first 2 shown]
	v_fmac_f32_e32 v149, v110, v8
	v_fmac_f32_e32 v153, v49, v0
	v_fma_f32 v74, v29, v6, -v119
	v_fmac_f32_e32 v147, v71, v2
	v_fmac_f32_e32 v144, v68, v8
	v_fmac_f32_e32 v137, v69, v8
	v_fma_f32 v68, v42, v4, -v118
	v_fmac_f32_e32 v136, v67, v4
	v_fmac_f32_e32 v146, v64, v0
	v_fmac_f32_e32 v140, v65, v0
	v_fma_f32 v38, v39, v10, -v165
	v_fmac_f32_e32 v132, v63, v10
	v_fma_f32 v39, v37, v6, -v167
	v_fmac_f32_e32 v133, v61, v6
	v_fma_f32 v40, v35, v2, -v169
	v_fma_f32 v41, v30, v8, -v164
	;; [unrolled: 1-line block ×4, first 2 shown]
	v_fmac_f32_e32 v130, v54, v4
	v_fma_f32 v43, v24, v0, -v168
	v_fmac_f32_e32 v134, v52, v0
	v_fmac_f32_e32 v126, v50, v10
	;; [unrolled: 1-line block ×4, first 2 shown]
	v_fma_f32 v36, v25, v0, -v7
	v_fmac_f32_e32 v128, v53, v0
	v_fma_f32 v37, v90, v2, -v1
	v_fmac_f32_e32 v129, v112, v2
	v_add_f32_e32 v0, v59, v73
	v_add_f32_e32 v2, v155, v51
	v_fmac_f32_e32 v131, v56, v8
	v_fmac_f32_e32 v125, v57, v8
	v_fma_f32 v42, v26, v4, -v166
	v_fma_f32 v34, v27, v4, -v11
	;; [unrolled: 1-line block ×3, first 2 shown]
	v_sub_f32_e32 v1, v149, v154
	v_sub_f32_e32 v3, v150, v153
	v_add_f32_e32 v4, v58, v75
	v_sub_f32_e32 v5, v151, v148
	v_add_f32_e32 v6, v70, v72
	v_add_f32_e32 v8, v152, v66
	;; [unrolled: 1-line block ×5, first 2 shown]
	v_sub_f32_e32 v7, v144, v147
	v_sub_f32_e32 v9, v143, v146
	v_add_f32_e32 v10, v68, v74
	v_sub_f32_e32 v11, v145, v142
	v_sub_f32_e32 v21, v137, v141
	;; [unrolled: 1-line block ×4, first 2 shown]
	v_add_f32_e32 v26, v41, v40
	v_add_f32_e32 v27, v38, v43
	v_sub_f32_e32 v29, v132, v134
	v_sub_f32_e32 v30, v133, v130
	v_add_f32_e32 v48, v32, v37
	v_add_f32_e32 v49, v33, v36
	v_sub_f32_e32 v52, v126, v128
	v_sub_f32_e32 v53, v127, v124
	v_add_f32_e32 v55, v2, v0
	v_sub_f32_e32 v56, v0, v4
	v_sub_f32_e32 v57, v4, v2
	v_sub_f32_e32 v61, v5, v3
	v_add_f32_e32 v63, v5, v3
	v_sub_f32_e32 v0, v2, v0
	v_sub_f32_e32 v2, v3, v1
	v_add_f32_e32 v3, v8, v6
	v_add_f32_e32 v69, v22, v20
	v_sub_f32_e32 v71, v22, v20
	v_sub_f32_e32 v20, v20, v24
	;; [unrolled: 1-line block ×3, first 2 shown]
	v_add_f32_e32 v28, v42, v39
	v_sub_f32_e32 v31, v131, v135
	v_add_f32_e32 v50, v34, v35
	v_sub_f32_e32 v54, v125, v129
	v_sub_f32_e32 v64, v8, v6
	;; [unrolled: 1-line block ×3, first 2 shown]
	v_add_f32_e32 v65, v11, v9
	v_sub_f32_e32 v67, v11, v9
	v_sub_f32_e32 v9, v9, v7
	v_add_f32_e32 v90, v25, v23
	v_sub_f32_e32 v91, v25, v23
	v_sub_f32_e32 v23, v23, v21
	v_add_f32_e32 v106, v27, v26
	v_add_f32_e32 v110, v30, v29
	;; [unrolled: 1-line block ×5, first 2 shown]
	v_sub_f32_e32 v5, v1, v5
	v_sub_f32_e32 v6, v6, v10
	v_mul_f32_e32 v55, 0x3f4a47b2, v56
	v_mul_f32_e32 v56, 0xbf08b237, v61
	v_add_f32_e32 v3, v10, v3
	v_add_f32_e32 v10, v24, v69
	v_mul_f32_e32 v61, 0x3f5ff5aa, v2
	v_mul_f32_e32 v20, 0x3f4a47b2, v20
	;; [unrolled: 1-line block ×3, first 2 shown]
	v_sub_f32_e32 v11, v7, v11
	v_sub_f32_e32 v25, v21, v25
	;; [unrolled: 1-line block ×14, first 2 shown]
	v_add_f32_e32 v1, v63, v1
	v_add_f32_e32 v7, v65, v7
	;; [unrolled: 1-line block ×7, first 2 shown]
	v_mul_f32_e32 v54, 0x3d64c772, v57
	v_mul_f32_e32 v63, 0x3d64c772, v8
	;; [unrolled: 1-line block ×6, first 2 shown]
	v_add_f32_e32 v84, v84, v4
	v_mul_f32_e32 v6, 0x3f4a47b2, v6
	v_fmamk_f32 v116, v5, 0x3eae86e6, v56
	v_fma_f32 v2, 0x3f5ff5aa, v2, -v56
	v_fma_f32 v5, 0xbeae86e6, v5, -v61
	v_fmamk_f32 v22, v22, 0x3d64c772, v20
	v_fma_f32 v61, 0x3f3bfb3b, v71, -v69
	v_fma_f32 v20, 0xbf3bfb3b, v71, -v20
	v_add_f32_e32 v71, v88, v3
	v_add_f32_e32 v87, v87, v10
	v_mul_f32_e32 v26, 0x3f4a47b2, v26
	v_mul_f32_e32 v106, 0x3d64c772, v27
	;; [unrolled: 1-line block ×4, first 2 shown]
	v_fmamk_f32 v57, v57, 0x3d64c772, v55
	v_fma_f32 v54, 0x3f3bfb3b, v0, -v54
	v_fma_f32 v0, 0xbf3bfb3b, v0, -v55
	;; [unrolled: 1-line block ×4, first 2 shown]
	v_fmamk_f32 v56, v11, 0x3eae86e6, v65
	v_fma_f32 v11, 0xbeae86e6, v11, -v67
	v_fma_f32 v23, 0x3f5ff5aa, v23, -v90
	v_fmamk_f32 v63, v25, 0x3eae86e6, v90
	v_fma_f32 v25, 0xbeae86e6, v25, -v91
	v_add_f32_e32 v85, v85, v24
	v_fmamk_f32 v4, v4, 0xbf955555, v84
	v_mul_f32_e32 v48, 0x3f4a47b2, v48
	v_mul_f32_e32 v112, 0x3d64c772, v49
	v_add_f32_e32 v86, v86, v31
	v_mul_f32_e32 v114, 0xbf08b237, v115
	v_mul_f32_e32 v115, 0x3f5ff5aa, v52
	v_fmamk_f32 v8, v8, 0x3d64c772, v6
	v_fma_f32 v6, 0xbf3bfb3b, v64, -v6
	v_fmac_f32_e32 v116, 0x3ee1c552, v1
	v_fmac_f32_e32 v2, 0x3ee1c552, v1
	;; [unrolled: 1-line block ×3, first 2 shown]
	v_fmamk_f32 v1, v3, 0xbf955555, v71
	v_fmamk_f32 v3, v10, 0xbf955555, v87
	v_fmamk_f32 v27, v27, 0x3d64c772, v26
	v_fma_f32 v64, 0x3f3bfb3b, v108, -v106
	v_fma_f32 v26, 0xbf3bfb3b, v108, -v26
	;; [unrolled: 1-line block ×3, first 2 shown]
	v_fmamk_f32 v65, v30, 0x3eae86e6, v110
	v_fma_f32 v30, 0xbeae86e6, v30, -v111
	v_fmac_f32_e32 v56, 0x3ee1c552, v7
	v_fmac_f32_e32 v9, 0x3ee1c552, v7
	;; [unrolled: 1-line block ×6, first 2 shown]
	v_fmamk_f32 v7, v24, 0xbf955555, v85
	v_add_f32_e32 v21, v57, v4
	v_fmamk_f32 v49, v49, 0x3d64c772, v48
	v_fma_f32 v67, 0x3f3bfb3b, v113, -v112
	v_fma_f32 v48, 0xbf3bfb3b, v113, -v48
	v_fmamk_f32 v10, v31, 0xbf955555, v86
	v_add_f32_e32 v24, v54, v4
	v_add_f32_e32 v0, v0, v4
	v_fma_f32 v52, 0x3f5ff5aa, v52, -v114
	v_fmamk_f32 v69, v53, 0x3eae86e6, v114
	v_fma_f32 v53, 0xbeae86e6, v53, -v115
	v_add_f32_e32 v4, v8, v1
	v_add_f32_e32 v8, v55, v1
	;; [unrolled: 1-line block ×6, first 2 shown]
	v_fmac_f32_e32 v65, 0x3ee1c552, v28
	v_fmac_f32_e32 v29, 0x3ee1c552, v28
	;; [unrolled: 1-line block ×3, first 2 shown]
	v_add_f32_e32 v20, v27, v7
	v_add_f32_e32 v27, v64, v7
	;; [unrolled: 1-line block ×7, first 2 shown]
	v_sub_f32_e32 v48, v24, v2
	v_add_f32_e32 v2, v2, v24
	v_add_f32_e32 v24, v5, v0
	v_sub_f32_e32 v0, v0, v5
	v_sub_f32_e32 v5, v21, v116
	v_fmac_f32_e32 v69, 0x3ee1c552, v50
	v_fmac_f32_e32 v52, 0x3ee1c552, v50
	v_fmac_f32_e32 v53, 0x3ee1c552, v50
	v_sub_f32_e32 v21, v8, v9
	v_add_f32_e32 v8, v9, v8
	v_add_f32_e32 v9, v11, v1
	v_sub_f32_e32 v1, v1, v11
	v_add_f32_e32 v11, v56, v4
	v_sub_f32_e32 v49, v22, v23
	v_add_f32_e32 v22, v23, v22
	v_add_f32_e32 v23, v25, v3
	v_sub_f32_e32 v4, v4, v56
	v_sub_f32_e32 v3, v3, v25
	v_add_f32_e32 v25, v63, v6
	v_sub_f32_e32 v50, v27, v29
	v_add_f32_e32 v27, v29, v27
	v_add_f32_e32 v29, v30, v7
	v_sub_f32_e32 v7, v7, v30
	v_add_f32_e32 v30, v65, v20
	ds_write2_b32 v107, v84, v31 offset1:4
	ds_write2_b32 v107, v24, v48 offset0:8 offset1:12
	ds_write2_b32 v107, v2, v0 offset0:16 offset1:20
	ds_write_b32 v107, v5 offset:96
	ds_write2_b32 v123, v71, v11 offset1:4
	ds_write2_b32 v123, v9, v21 offset0:8 offset1:12
	ds_write2_b32 v123, v8, v1 offset0:16 offset1:20
	ds_write_b32 v123, v4 offset:96
	ds_write2_b32 v122, v87, v25 offset1:4
	v_lshl_add_u32 v48, v105, 2, 0
	v_sub_f32_e32 v6, v6, v63
	v_lshl_add_u32 v105, v100, 2, 0
	v_sub_f32_e32 v20, v20, v65
	v_lshl_add_u32 v106, v79, 2, 0
	v_add_nc_u32_e32 v56, 0xa00, v97
	v_sub_f32_e32 v54, v28, v52
	v_add_f32_e32 v28, v52, v28
	v_add_f32_e32 v52, v53, v10
	v_sub_f32_e32 v10, v10, v53
	v_add_f32_e32 v53, v69, v26
	ds_write2_b32 v122, v23, v49 offset0:8 offset1:12
	ds_write2_b32 v122, v22, v3 offset0:16 offset1:20
	ds_write_b32 v122, v6 offset:96
	v_lshl_add_u32 v49, v13, 2, 0
	v_add_nc_u32_e32 v57, 0x1a00, v97
	v_sub_f32_e32 v108, v26, v69
	ds_write2_b32 v48, v85, v30 offset1:4
	ds_write2_b32 v48, v29, v50 offset0:8 offset1:12
	ds_write2_b32 v48, v27, v7 offset0:16 offset1:20
	ds_write_b32 v48, v20 offset:96
	ds_write2_b32 v49, v86, v53 offset1:4
	ds_write2_b32 v49, v52, v54 offset0:8 offset1:12
	ds_write2_b32 v49, v28, v10 offset0:16 offset1:20
	ds_write_b32 v49, v108 offset:96
	s_waitcnt lgkmcnt(0)
	s_barrier
	buffer_gl0_inv
	ds_read_b32 v116, v97
	ds_read2_b32 v[22:23], v83 offset0:84 offset1:140
	ds_read2_b32 v[20:21], v82 offset0:68 offset1:124
	ds_read2_b32 v[4:5], v82 offset0:180 offset1:236
	ds_read2_b32 v[2:3], v81 offset0:36 offset1:92
	v_lshl_add_u32 v13, v80, 2, 0
	v_add_nc_u32_e32 v50, 0x600, v97
	ds_read_b32 v111, v102
	ds_read_b32 v114, v103
	;; [unrolled: 1-line block ×6, first 2 shown]
	ds_read2_b32 v[8:9], v81 offset0:148 offset1:204
	ds_read2_b32 v[24:25], v50 offset0:120 offset1:176
	;; [unrolled: 1-line block ×8, first 2 shown]
	ds_read_b32 v118, v101
	ds_read_b32 v119, v99
	ds_read_b32 v110, v97 offset:7504
	s_and_saveexec_b32 s1, s0
	s_cbranch_execz .LBB0_21
; %bb.20:
	ds_read_b32 v108, v97 offset:3808
	ds_read_b32 v12, v97 offset:7728
.LBB0_21:
	s_or_b32 exec_lo, exec_lo, s1
	v_add_f32_e32 v52, v149, v154
	v_add_f32_e32 v53, v150, v153
	v_sub_f32_e32 v54, v59, v73
	v_add_f32_e32 v55, v148, v151
	v_sub_f32_e32 v51, v155, v51
	v_sub_f32_e32 v58, v75, v58
	v_add_f32_e32 v59, v53, v52
	v_sub_f32_e32 v61, v53, v52
	v_sub_f32_e32 v52, v52, v55
	;; [unrolled: 1-line block ×3, first 2 shown]
	v_add_f32_e32 v63, v58, v51
	v_add_f32_e32 v55, v55, v59
	v_sub_f32_e32 v59, v58, v51
	v_sub_f32_e32 v58, v54, v58
	;; [unrolled: 1-line block ×3, first 2 shown]
	v_add_f32_e32 v54, v63, v54
	v_add_f32_e32 v63, v89, v55
	v_mul_f32_e32 v64, 0x3d64c772, v53
	v_mul_f32_e32 v59, 0xbf08b237, v59
	;; [unrolled: 1-line block ×4, first 2 shown]
	v_fmamk_f32 v55, v55, 0xbf955555, v63
	v_fma_f32 v64, 0x3f3bfb3b, v61, -v64
	v_fma_f32 v51, 0x3f5ff5aa, v51, -v59
	v_fmamk_f32 v53, v53, 0x3d64c772, v52
	v_fma_f32 v52, 0xbf3bfb3b, v61, -v52
	v_fmamk_f32 v61, v58, 0x3eae86e6, v59
	v_add_f32_e32 v59, v64, v55
	v_fmac_f32_e32 v51, 0x3ee1c552, v54
	v_fma_f32 v58, 0xbeae86e6, v58, -v65
	v_add_f32_e32 v65, v143, v146
	v_sub_f32_e32 v67, v70, v72
	v_add_f32_e32 v69, v142, v145
	v_add_f32_e32 v64, v51, v59
	v_sub_f32_e32 v51, v59, v51
	v_add_f32_e32 v59, v144, v147
	v_sub_f32_e32 v66, v152, v66
	v_sub_f32_e32 v68, v74, v68
	v_sub_f32_e32 v44, v44, v60
	v_add_f32_e32 v60, v136, v139
	v_add_f32_e32 v70, v65, v59
	v_sub_f32_e32 v71, v65, v59
	v_sub_f32_e32 v59, v59, v69
	v_sub_f32_e32 v65, v69, v65
	v_add_f32_e32 v72, v68, v66
	;; [unrolled: 5-line block ×3, first 2 shown]
	v_add_f32_e32 v72, v121, v69
	v_mul_f32_e32 v73, 0x3d64c772, v65
	v_mul_f32_e32 v70, 0xbf08b237, v70
	;; [unrolled: 1-line block ×4, first 2 shown]
	v_fmamk_f32 v69, v69, 0xbf955555, v72
	v_fma_f32 v73, 0x3f3bfb3b, v71, -v73
	v_fma_f32 v66, 0x3f5ff5aa, v66, -v70
	v_fmamk_f32 v65, v65, 0x3d64c772, v59
	v_fma_f32 v59, 0xbf3bfb3b, v71, -v59
	v_fmamk_f32 v71, v68, 0x3eae86e6, v70
	v_fma_f32 v68, 0xbeae86e6, v68, -v74
	v_add_f32_e32 v70, v73, v69
	v_fmac_f32_e32 v66, 0x3ee1c552, v67
	v_add_f32_e32 v65, v65, v69
	v_add_f32_e32 v59, v59, v69
	v_fmac_f32_e32 v71, 0x3ee1c552, v67
	v_fmac_f32_e32 v68, 0x3ee1c552, v67
	v_add_f32_e32 v67, v66, v70
	v_sub_f32_e32 v66, v70, v66
	v_add_f32_e32 v69, v137, v141
	v_add_f32_e32 v70, v138, v140
	v_sub_f32_e32 v46, v47, v46
	v_sub_f32_e32 v45, v62, v45
	v_add_f32_e32 v53, v53, v55
	v_add_f32_e32 v52, v52, v55
	;; [unrolled: 1-line block ×3, first 2 shown]
	v_sub_f32_e32 v62, v70, v69
	v_sub_f32_e32 v69, v69, v60
	;; [unrolled: 1-line block ×3, first 2 shown]
	v_add_f32_e32 v73, v45, v46
	v_add_f32_e32 v47, v60, v47
	v_sub_f32_e32 v60, v45, v46
	v_sub_f32_e32 v45, v44, v45
	;; [unrolled: 1-line block ×3, first 2 shown]
	v_add_f32_e32 v44, v73, v44
	v_add_f32_e32 v73, v120, v47
	v_mul_f32_e32 v69, 0x3f4a47b2, v69
	v_mul_f32_e32 v74, 0x3d64c772, v70
	;; [unrolled: 1-line block ×4, first 2 shown]
	v_fmamk_f32 v47, v47, 0xbf955555, v73
	v_fmamk_f32 v70, v70, 0x3d64c772, v69
	v_fma_f32 v74, 0x3f3bfb3b, v62, -v74
	v_fma_f32 v46, 0x3f5ff5aa, v46, -v60
	v_fmac_f32_e32 v61, 0x3ee1c552, v54
	v_fmac_f32_e32 v58, 0x3ee1c552, v54
	v_fma_f32 v62, 0xbf3bfb3b, v62, -v69
	v_fmamk_f32 v69, v45, 0x3eae86e6, v60
	v_fma_f32 v45, 0xbeae86e6, v45, -v75
	v_add_f32_e32 v60, v70, v47
	v_add_f32_e32 v70, v74, v47
	v_fmac_f32_e32 v46, 0x3ee1c552, v44
	v_sub_f32_e32 v54, v53, v61
	v_sub_f32_e32 v55, v52, v58
	v_add_f32_e32 v52, v58, v52
	v_add_f32_e32 v53, v61, v53
	v_sub_f32_e32 v58, v65, v71
	v_sub_f32_e32 v61, v59, v68
	v_fmac_f32_e32 v69, 0x3ee1c552, v44
	v_fmac_f32_e32 v45, 0x3ee1c552, v44
	v_add_f32_e32 v44, v68, v59
	v_add_f32_e32 v59, v71, v65
	;; [unrolled: 1-line block ×3, first 2 shown]
	v_sub_f32_e32 v46, v70, v46
	v_add_f32_e32 v70, v131, v135
	v_add_f32_e32 v71, v132, v134
	v_sub_f32_e32 v40, v41, v40
	v_add_f32_e32 v41, v130, v133
	v_sub_f32_e32 v38, v38, v43
	v_sub_f32_e32 v39, v39, v42
	v_add_f32_e32 v42, v71, v70
	v_sub_f32_e32 v43, v71, v70
	v_sub_f32_e32 v70, v70, v41
	;; [unrolled: 1-line block ×3, first 2 shown]
	v_add_f32_e32 v74, v39, v38
	v_add_f32_e32 v41, v41, v42
	v_sub_f32_e32 v42, v39, v38
	v_sub_f32_e32 v39, v40, v39
	;; [unrolled: 1-line block ×3, first 2 shown]
	v_add_f32_e32 v40, v74, v40
	v_add_f32_e32 v15, v15, v41
	v_mul_f32_e32 v70, 0x3f4a47b2, v70
	v_mul_f32_e32 v74, 0x3d64c772, v71
	;; [unrolled: 1-line block ×4, first 2 shown]
	v_fmamk_f32 v41, v41, 0xbf955555, v15
	v_fmamk_f32 v71, v71, 0x3d64c772, v70
	v_fma_f32 v74, 0x3f3bfb3b, v43, -v74
	v_fma_f32 v38, 0x3f5ff5aa, v38, -v42
	;; [unrolled: 1-line block ×3, first 2 shown]
	v_fmamk_f32 v70, v39, 0x3eae86e6, v42
	v_add_f32_e32 v42, v71, v41
	v_add_f32_e32 v71, v74, v41
	v_fmac_f32_e32 v38, 0x3ee1c552, v40
	v_add_f32_e32 v47, v62, v47
	v_sub_f32_e32 v62, v60, v69
	v_add_f32_e32 v41, v43, v41
	v_add_f32_e32 v43, v69, v60
	;; [unrolled: 1-line block ×3, first 2 shown]
	v_sub_f32_e32 v38, v71, v38
	v_add_f32_e32 v69, v125, v129
	v_add_f32_e32 v71, v126, v128
	v_sub_f32_e32 v32, v32, v37
	v_add_f32_e32 v37, v124, v127
	v_sub_f32_e32 v33, v33, v36
	v_sub_f32_e32 v34, v35, v34
	v_add_f32_e32 v35, v71, v69
	v_sub_f32_e32 v36, v71, v69
	v_sub_f32_e32 v69, v69, v37
	;; [unrolled: 1-line block ×3, first 2 shown]
	v_add_f32_e32 v74, v34, v33
	v_add_f32_e32 v35, v37, v35
	v_sub_f32_e32 v37, v34, v33
	v_sub_f32_e32 v33, v33, v32
	v_fma_f32 v39, 0xbeae86e6, v39, -v75
	v_sub_f32_e32 v34, v32, v34
	v_add_f32_e32 v32, v74, v32
	v_add_f32_e32 v74, v109, v35
	v_mul_f32_e32 v69, 0x3f4a47b2, v69
	v_mul_f32_e32 v75, 0x3d64c772, v71
	;; [unrolled: 1-line block ×4, first 2 shown]
	v_fmamk_f32 v35, v35, 0xbf955555, v74
	v_fmamk_f32 v71, v71, 0x3d64c772, v69
	v_fma_f32 v75, 0x3f3bfb3b, v36, -v75
	v_fma_f32 v36, 0xbf3bfb3b, v36, -v69
	v_fmamk_f32 v69, v34, 0x3eae86e6, v37
	v_fma_f32 v33, 0x3f5ff5aa, v33, -v37
	v_fma_f32 v34, 0xbeae86e6, v34, -v76
	v_fmac_f32_e32 v70, 0x3ee1c552, v40
	v_fmac_f32_e32 v39, 0x3ee1c552, v40
	v_add_f32_e32 v37, v71, v35
	v_add_f32_e32 v71, v75, v35
	;; [unrolled: 1-line block ×3, first 2 shown]
	v_fmac_f32_e32 v69, 0x3ee1c552, v32
	v_fmac_f32_e32 v34, 0x3ee1c552, v32
	;; [unrolled: 1-line block ×3, first 2 shown]
	v_sub_f32_e32 v65, v47, v45
	v_add_f32_e32 v40, v45, v47
	v_sub_f32_e32 v45, v42, v70
	v_sub_f32_e32 v47, v41, v39
	v_add_f32_e32 v32, v39, v41
	v_add_f32_e32 v36, v70, v42
	v_sub_f32_e32 v39, v37, v69
	v_sub_f32_e32 v41, v35, v34
	v_add_f32_e32 v42, v33, v71
	v_sub_f32_e32 v33, v71, v33
	v_add_f32_e32 v34, v34, v35
	v_add_f32_e32 v109, v69, v37
	s_waitcnt lgkmcnt(0)
	s_barrier
	buffer_gl0_inv
	ds_write2_b32 v107, v63, v54 offset1:4
	ds_write2_b32 v107, v55, v64 offset0:8 offset1:12
	ds_write2_b32 v107, v51, v52 offset0:16 offset1:20
	ds_write_b32 v107, v53 offset:96
	ds_write2_b32 v123, v72, v58 offset1:4
	ds_write2_b32 v123, v61, v67 offset0:8 offset1:12
	ds_write2_b32 v123, v66, v44 offset0:16 offset1:20
	ds_write_b32 v123, v59 offset:96
	;; [unrolled: 4-line block ×5, first 2 shown]
	v_add_nc_u32_e32 v15, 0xe00, v97
	v_add_nc_u32_e32 v32, 0x1000, v97
	;; [unrolled: 1-line block ×3, first 2 shown]
	s_waitcnt lgkmcnt(0)
	s_barrier
	buffer_gl0_inv
	ds_read_b32 v124, v97
	ds_read2_b32 v[54:55], v15 offset0:84 offset1:140
	ds_read2_b32 v[52:53], v32 offset0:68 offset1:124
	;; [unrolled: 1-line block ×4, first 2 shown]
	ds_read_b32 v121, v101
	ds_read_b32 v122, v102
	;; [unrolled: 1-line block ×5, first 2 shown]
	v_add_nc_u32_e32 v32, 0x800, v97
	v_add_nc_u32_e32 v34, 0x1800, v97
	;; [unrolled: 1-line block ×3, first 2 shown]
	ds_read_b32 v125, v104
	ds_read_b32 v107, v13
	ds_read2_b32 v[42:43], v33 offset0:148 offset1:204
	ds_read2_b32 v[38:39], v50 offset0:120 offset1:176
	;; [unrolled: 1-line block ×8, first 2 shown]
	ds_read_b32 v126, v99
	ds_read_b32 v127, v97 offset:7504
	s_and_saveexec_b32 s1, s0
	s_cbranch_execz .LBB0_23
; %bb.22:
	ds_read_b32 v109, v97 offset:3808
	ds_read_b32 v14, v97 offset:7728
.LBB0_23:
	s_or_b32 exec_lo, exec_lo, s1
	v_lshrrev_b16 v56, 2, v93
	v_subrev_nc_u32_e32 v57, 28, v92
	v_lshrrev_b16 v58, 2, v94
	v_lshrrev_b16 v59, 2, v95
	;; [unrolled: 1-line block ×3, first 2 shown]
	v_and_b32_e32 v56, 63, v56
	v_mov_b32_e32 v130, 0x4925
	v_lshrrev_b16 v61, 2, v98
	v_cndmask_b32_e64 v128, v57, v92, s0
	v_and_b32_e32 v57, 63, v58
	v_mul_lo_u16 v56, v56, 37
	v_and_b32_e32 v58, 63, v59
	v_add_nc_u16 v67, v92, 0x1f8
	v_add_nc_u16 v68, v92, 0x230
	;; [unrolled: 1-line block ×3, first 2 shown]
	v_mov_b32_e32 v129, 0
	v_lshrrev_b16 v62, 2, v100
	v_mul_u32_u24_sdwa v59, v60, v130 dst_sel:DWORD dst_unused:UNUSED_PAD src0_sel:WORD_0 src1_sel:DWORD
	v_mul_u32_u24_sdwa v60, v61, v130 dst_sel:DWORD dst_unused:UNUSED_PAD src0_sel:WORD_0 src1_sel:DWORD
	v_mul_lo_u16 v61, v57, 37
	v_lshrrev_b16 v131, 8, v56
	v_mul_lo_u16 v58, v58, 37
	v_lshrrev_b16 v70, 2, v79
	v_lshrrev_b16 v71, 2, v80
	;; [unrolled: 1-line block ×5, first 2 shown]
	v_lshlrev_b64 v[56:57], 3, v[128:129]
	v_mul_u32_u24_sdwa v62, v62, v130 dst_sel:DWORD dst_unused:UNUSED_PAD src0_sel:WORD_0 src1_sel:DWORD
	v_lshrrev_b16 v129, 8, v61
	v_mul_lo_u16 v63, v131, 28
	v_lshrrev_b16 v132, 8, v58
	v_mul_u32_u24_sdwa v70, v70, v130 dst_sel:DWORD dst_unused:UNUSED_PAD src0_sel:WORD_0 src1_sel:DWORD
	v_mul_u32_u24_sdwa v71, v71, v130 dst_sel:DWORD dst_unused:UNUSED_PAD src0_sel:WORD_0 src1_sel:DWORD
	;; [unrolled: 1-line block ×5, first 2 shown]
	v_lshrrev_b32_e32 v134, 17, v59
	v_lshrrev_b32_e32 v135, 17, v60
	v_mul_lo_u16 v61, v129, 28
	v_lshrrev_b32_e32 v136, 17, v62
	v_sub_nc_u16 v133, v93, v63
	v_mul_lo_u16 v63, v132, 28
	v_lshrrev_b32_e32 v142, 17, v70
	v_lshrrev_b32_e32 v143, 17, v71
	;; [unrolled: 1-line block ×5, first 2 shown]
	v_mul_lo_u16 v59, v134, 28
	v_mov_b32_e32 v82, 3
	v_mul_lo_u16 v60, v135, 28
	v_sub_nc_u16 v137, v94, v61
	v_mul_lo_u16 v61, v136, 28
	v_add_co_u32 v56, s1, s12, v56
	v_sub_nc_u16 v138, v95, v63
	v_mul_lo_u16 v70, v142, 28
	v_mul_lo_u16 v71, v143, 28
	;; [unrolled: 1-line block ×5, first 2 shown]
	v_add_co_ci_u32_e64 v57, s1, s13, v57, s1
	v_sub_nc_u16 v139, v96, v59
	v_lshlrev_b32_sdwa v58, v82, v133 dst_sel:DWORD dst_unused:UNUSED_PAD src0_sel:DWORD src1_sel:BYTE_0
	v_sub_nc_u16 v140, v98, v60
	v_lshlrev_b32_sdwa v64, v82, v137 dst_sel:DWORD dst_unused:UNUSED_PAD src0_sel:DWORD src1_sel:BYTE_0
	;; [unrolled: 2-line block ×3, first 2 shown]
	v_sub_nc_u16 v147, v79, v70
	v_sub_nc_u16 v148, v80, v71
	;; [unrolled: 1-line block ×5, first 2 shown]
	s_clause 0x3
	global_load_dwordx2 v[60:61], v[56:57], off offset:192
	global_load_dwordx2 v[62:63], v58, s[12:13] offset:192
	global_load_dwordx2 v[64:65], v64, s[12:13] offset:192
	;; [unrolled: 1-line block ×3, first 2 shown]
	v_lshlrev_b32_sdwa v56, v82, v139 dst_sel:DWORD dst_unused:UNUSED_PAD src0_sel:DWORD src1_sel:WORD_0
	v_lshlrev_b32_sdwa v57, v82, v140 dst_sel:DWORD dst_unused:UNUSED_PAD src0_sel:DWORD src1_sel:WORD_0
	v_lshlrev_b32_sdwa v66, v82, v141 dst_sel:DWORD dst_unused:UNUSED_PAD src0_sel:DWORD src1_sel:WORD_0
	v_lshlrev_b32_sdwa v67, v82, v147 dst_sel:DWORD dst_unused:UNUSED_PAD src0_sel:DWORD src1_sel:WORD_0
	v_lshlrev_b32_sdwa v68, v82, v148 dst_sel:DWORD dst_unused:UNUSED_PAD src0_sel:DWORD src1_sel:WORD_0
	v_lshlrev_b32_sdwa v69, v82, v149 dst_sel:DWORD dst_unused:UNUSED_PAD src0_sel:DWORD src1_sel:WORD_0
	v_lshlrev_b32_sdwa v70, v82, v150 dst_sel:DWORD dst_unused:UNUSED_PAD src0_sel:DWORD src1_sel:WORD_0
	v_lshlrev_b32_sdwa v71, v82, v151 dst_sel:DWORD dst_unused:UNUSED_PAD src0_sel:DWORD src1_sel:WORD_0
	s_clause 0x7
	global_load_dwordx2 v[74:75], v56, s[12:13] offset:192
	global_load_dwordx2 v[76:77], v57, s[12:13] offset:192
	;; [unrolled: 1-line block ×8, first 2 shown]
	v_add_nc_u16 v56, v92, 0x2a0
	v_add_nc_u16 v57, v92, 0x2d8
	;; [unrolled: 1-line block ×4, first 2 shown]
	v_or_b32_e32 v85, 0x380, v92
	v_lshrrev_b16 v86, 2, v56
	v_lshrrev_b16 v87, 2, v57
	;; [unrolled: 1-line block ×5, first 2 shown]
	v_mul_u32_u24_sdwa v86, v86, v130 dst_sel:DWORD dst_unused:UNUSED_PAD src0_sel:WORD_0 src1_sel:DWORD
	v_mul_u32_u24_sdwa v87, v87, v130 dst_sel:DWORD dst_unused:UNUSED_PAD src0_sel:WORD_0 src1_sel:DWORD
	;; [unrolled: 1-line block ×5, first 2 shown]
	v_lshrrev_b32_e32 v152, 17, v86
	v_lshrrev_b32_e32 v153, 17, v87
	;; [unrolled: 1-line block ×5, first 2 shown]
	v_mul_lo_u16 v86, v152, 28
	v_mul_lo_u16 v87, v153, 28
	;; [unrolled: 1-line block ×5, first 2 shown]
	v_sub_nc_u16 v157, v56, v86
	v_sub_nc_u16 v158, v57, v87
	;; [unrolled: 1-line block ×5, first 2 shown]
	v_lshlrev_b32_sdwa v56, v82, v157 dst_sel:DWORD dst_unused:UNUSED_PAD src0_sel:DWORD src1_sel:WORD_0
	v_lshlrev_b32_sdwa v57, v82, v158 dst_sel:DWORD dst_unused:UNUSED_PAD src0_sel:DWORD src1_sel:WORD_0
	;; [unrolled: 1-line block ×5, first 2 shown]
	s_clause 0x4
	global_load_dwordx2 v[90:91], v56, s[12:13] offset:192
	global_load_dwordx2 v[88:89], v57, s[12:13] offset:192
	;; [unrolled: 1-line block ×5, first 2 shown]
	v_add_nc_u16 v56, v92, 0x3b8
	v_cmp_lt_u32_e64 s1, 27, v92
	v_lshlrev_b32_e32 v128, 2, v128
	v_mov_b32_e32 v163, 0xe0
	v_mov_b32_e32 v164, 2
	v_lshrrev_b16 v57, 2, v56
	v_mul_u32_u24_e32 v146, 0xe0, v146
	v_mul_u32_u24_e32 v166, 0xe0, v144
	v_mul_u32_u24_sdwa v165, v129, v163 dst_sel:DWORD dst_unused:UNUSED_PAD src0_sel:WORD_0 src1_sel:DWORD
	v_lshlrev_b32_sdwa v129, v164, v139 dst_sel:DWORD dst_unused:UNUSED_PAD src0_sel:DWORD src1_sel:WORD_0
	v_mul_u32_u24_sdwa v57, v57, v130 dst_sel:DWORD dst_unused:UNUSED_PAD src0_sel:WORD_0 src1_sel:DWORD
	v_cndmask_b32_e64 v130, 0, 0xe0, s1
	v_lshlrev_b32_sdwa v139, v164, v147 dst_sel:DWORD dst_unused:UNUSED_PAD src0_sel:DWORD src1_sel:WORD_0
	v_lshlrev_b32_sdwa v137, v164, v137 dst_sel:DWORD dst_unused:UNUSED_PAD src0_sel:DWORD src1_sel:BYTE_0
	v_mul_u32_u24_e32 v152, 0xe0, v152
	v_lshrrev_b32_e32 v57, 17, v57
	v_add3_u32 v128, 0, v130, v128
	v_mul_u32_u24_e32 v130, 0xe0, v134
	v_mul_u32_u24_e32 v134, 0xe0, v135
	;; [unrolled: 1-line block ×3, first 2 shown]
	v_mul_lo_u16 v57, v57, 28
	v_mul_u32_u24_e32 v136, 0xe0, v142
	v_mul_u32_u24_e32 v142, 0xe0, v143
	v_mul_u32_u24_sdwa v143, v131, v163 dst_sel:DWORD dst_unused:UNUSED_PAD src0_sel:WORD_0 src1_sel:DWORD
	v_mul_u32_u24_sdwa v163, v132, v163 dst_sel:DWORD dst_unused:UNUSED_PAD src0_sel:WORD_0 src1_sel:DWORD
	v_sub_nc_u16 v56, v56, v57
	v_lshlrev_b32_sdwa v131, v164, v140 dst_sel:DWORD dst_unused:UNUSED_PAD src0_sel:DWORD src1_sel:WORD_0
	v_lshlrev_b32_sdwa v132, v164, v141 dst_sel:DWORD dst_unused:UNUSED_PAD src0_sel:DWORD src1_sel:WORD_0
	v_add3_u32 v129, 0, v130, v129
	v_lshlrev_b32_sdwa v140, v164, v148 dst_sel:DWORD dst_unused:UNUSED_PAD src0_sel:DWORD src1_sel:WORD_0
	v_and_b32_e32 v162, 0xffff, v56
	v_add3_u32 v130, 0, v134, v131
	v_add3_u32 v131, 0, v135, v132
	;; [unrolled: 1-line block ×3, first 2 shown]
	v_lshlrev_b32_sdwa v139, v164, v151 dst_sel:DWORD dst_unused:UNUSED_PAD src0_sel:DWORD src1_sel:WORD_0
	v_lshlrev_b32_e32 v56, 3, v162
	v_add3_u32 v144, 0, v165, v137
	v_lshlrev_b32_sdwa v141, v164, v133 dst_sel:DWORD dst_unused:UNUSED_PAD src0_sel:DWORD src1_sel:BYTE_0
	v_lshlrev_b32_sdwa v138, v164, v138 dst_sel:DWORD dst_unused:UNUSED_PAD src0_sel:DWORD src1_sel:BYTE_0
	v_add3_u32 v137, 0, v146, v139
	global_load_dwordx2 v[56:57], v56, s[12:13] offset:192
	v_add3_u32 v133, 0, v142, v140
	v_lshlrev_b32_sdwa v140, v164, v157 dst_sel:DWORD dst_unused:UNUSED_PAD src0_sel:DWORD src1_sel:WORD_0
	v_mul_u32_u24_e32 v153, 0xe0, v153
	v_lshlrev_b32_sdwa v142, v164, v158 dst_sel:DWORD dst_unused:UNUSED_PAD src0_sel:DWORD src1_sel:WORD_0
	v_mul_u32_u24_e32 v154, 0xe0, v154
	v_lshlrev_b32_sdwa v147, v164, v159 dst_sel:DWORD dst_unused:UNUSED_PAD src0_sel:DWORD src1_sel:WORD_0
	v_mul_u32_u24_e32 v155, 0xe0, v155
	v_lshlrev_b32_sdwa v148, v164, v160 dst_sel:DWORD dst_unused:UNUSED_PAD src0_sel:DWORD src1_sel:WORD_0
	v_mul_u32_u24_e32 v167, 0xe0, v145
	v_mul_u32_u24_e32 v156, 0xe0, v156
	v_lshlrev_b32_sdwa v134, v164, v149 dst_sel:DWORD dst_unused:UNUSED_PAD src0_sel:DWORD src1_sel:WORD_0
	v_lshlrev_b32_sdwa v149, v164, v161 dst_sel:DWORD dst_unused:UNUSED_PAD src0_sel:DWORD src1_sel:WORD_0
	v_add3_u32 v145, 0, v163, v138
	v_add3_u32 v138, 0, v152, v140
	;; [unrolled: 1-line block ×6, first 2 shown]
	v_lshlrev_b32_sdwa v136, v164, v150 dst_sel:DWORD dst_unused:UNUSED_PAD src0_sel:DWORD src1_sel:WORD_0
	v_add3_u32 v135, 0, v166, v134
	v_add3_u32 v142, 0, v156, v149
	v_lshl_add_u32 v134, v162, 2, 0
	s_waitcnt vmcnt(0) lgkmcnt(0)
	s_barrier
	buffer_gl0_inv
	v_add3_u32 v136, 0, v167, v136
	v_mul_f32_e32 v146, v54, v61
	v_mul_f32_e32 v152, v55, v63
	;; [unrolled: 1-line block ×4, first 2 shown]
	v_fma_f32 v146, v22, v60, -v146
	v_mul_f32_e32 v147, v48, v75
	v_mul_f32_e32 v148, v49, v77
	;; [unrolled: 1-line block ×4, first 2 shown]
	v_sub_f32_e32 v146, v116, v146
	v_mul_f32_e32 v151, v42, v73
	v_mul_f32_e32 v155, v43, v67
	v_mul_f32_e32 v156, v44, v69
	v_mul_f32_e32 v157, v45, v71
	v_fma_f32 v116, v116, 2.0, -v146
	v_fma_f32 v152, v23, v62, -v152
	v_fma_f32 v153, v20, v64, -v153
	;; [unrolled: 1-line block ×11, first 2 shown]
	ds_write2_b32 v128, v116, v146 offset1:28
	v_sub_f32_e32 v116, v119, v152
	v_sub_f32_e32 v146, v118, v153
	v_sub_f32_e32 v152, v111, v154
	v_sub_f32_e32 v147, v114, v147
	v_sub_f32_e32 v148, v117, v148
	v_sub_f32_e32 v149, v112, v149
	v_sub_f32_e32 v150, v113, v150
	v_sub_f32_e32 v151, v115, v151
	v_sub_f32_e32 v153, v24, v155
	v_sub_f32_e32 v154, v25, v156
	v_sub_f32_e32 v155, v26, v157
	v_fma_f32 v119, v119, 2.0, -v116
	v_fma_f32 v118, v118, 2.0, -v146
	;; [unrolled: 1-line block ×5, first 2 shown]
	v_mul_f32_e32 v158, v50, v91
	v_mul_f32_e32 v159, v51, v89
	;; [unrolled: 1-line block ×5, first 2 shown]
	v_fma_f32 v158, v6, v90, -v158
	v_fma_f32 v159, v7, v88, -v159
	;; [unrolled: 1-line block ×5, first 2 shown]
	v_sub_f32_e32 v156, v27, v158
	v_sub_f32_e32 v157, v28, v159
	;; [unrolled: 1-line block ×5, first 2 shown]
	v_fma_f32 v112, v112, 2.0, -v149
	v_fma_f32 v113, v113, 2.0, -v150
	;; [unrolled: 1-line block ×11, first 2 shown]
	ds_write2_b32 v143, v119, v116 offset1:28
	ds_write2_b32 v144, v118, v146 offset1:28
	;; [unrolled: 1-line block ×16, first 2 shown]
	s_and_saveexec_b32 s1, s0
	s_cbranch_execz .LBB0_25
; %bb.24:
	v_mul_f32_e32 v24, v14, v57
	v_add_nc_u32_e32 v26, 0x1c00, v134
	v_fma_f32 v24, v12, v56, -v24
	v_sub_f32_e32 v24, v108, v24
	v_fma_f32 v25, v108, 2.0, -v24
	ds_write2_b32 v26, v25, v24 offset0:112 offset1:140
.LBB0_25:
	s_or_b32 exec_lo, exec_lo, s1
	v_mul_f32_e32 v1, v1, v85
	v_mul_f32_e32 v3, v3, v81
	;; [unrolled: 1-line block ×9, first 2 shown]
	v_fmac_f32_e32 v1, v41, v84
	v_fmac_f32_e32 v3, v47, v80
	;; [unrolled: 1-line block ×3, first 2 shown]
	v_mul_f32_e32 v22, v22, v61
	v_mul_f32_e32 v23, v23, v63
	;; [unrolled: 1-line block ×8, first 2 shown]
	v_fmac_f32_e32 v9, v43, v66
	v_fmac_f32_e32 v10, v44, v68
	v_fmac_f32_e32 v11, v45, v70
	v_fmac_f32_e32 v6, v50, v90
	v_fmac_f32_e32 v7, v51, v88
	v_fmac_f32_e32 v0, v40, v82
	v_sub_f32_e32 v80, v36, v1
	v_sub_f32_e32 v67, v15, v3
	;; [unrolled: 1-line block ×3, first 2 shown]
	v_fmac_f32_e32 v22, v54, v60
	v_fmac_f32_e32 v23, v55, v62
	v_fmac_f32_e32 v20, v52, v64
	v_fmac_f32_e32 v21, v53, v58
	v_fmac_f32_e32 v4, v48, v74
	v_fmac_f32_e32 v5, v49, v76
	v_fmac_f32_e32 v2, v46, v78
	v_fmac_f32_e32 v8, v42, v72
	v_sub_f32_e32 v69, v38, v9
	v_sub_f32_e32 v70, v39, v10
	;; [unrolled: 1-line block ×6, first 2 shown]
	v_fma_f32 v85, v36, 2.0, -v80
	v_add_nc_u32_e32 v36, 0xc00, v97
	v_add_nc_u32_e32 v42, 0x1400, v97
	v_add_nc_u32_e32 v47, 0x1c00, v97
	v_fma_f32 v72, v15, 2.0, -v67
	v_add_nc_u32_e32 v15, 0x800, v97
	v_add_nc_u32_e32 v41, 0x1000, v97
	v_add_nc_u32_e32 v45, 0x1200, v97
	;; [unrolled: 4-line block ×3, first 2 shown]
	v_sub_f32_e32 v44, v124, v22
	v_sub_f32_e32 v49, v126, v23
	;; [unrolled: 1-line block ×8, first 2 shown]
	v_fma_f32 v74, v38, 2.0, -v69
	v_fma_f32 v75, v39, 2.0, -v70
	;; [unrolled: 1-line block ×6, first 2 shown]
	s_waitcnt lgkmcnt(0)
	s_barrier
	buffer_gl0_inv
	ds_read_b32 v48, v97
	ds_read2_b32 v[30:31], v15 offset0:48 offset1:104
	ds_read2_b32 v[0:1], v36 offset0:16 offset1:72
	;; [unrolled: 1-line block ×10, first 2 shown]
	ds_read2_b32 v[4:5], v47 offset1:56
	ds_read_b32 v43, v101
	ds_read_b32 v39, v102
	ds_read2_b32 v[6:7], v40 offset0:192 offset1:248
	ds_read2_b32 v[26:27], v52 offset0:112 offset1:168
	ds_read2_b32 v[22:23], v37 offset0:32 offset1:88
	ds_read_b32 v51, v104
	ds_read_b32 v38, v103
	;; [unrolled: 1-line block ×3, first 2 shown]
	ds_read_b32 v46, v97 offset:7616
	v_fma_f32 v53, v124, 2.0, -v44
	v_fma_f32 v54, v126, 2.0, -v49
	;; [unrolled: 1-line block ×8, first 2 shown]
	s_waitcnt lgkmcnt(0)
	s_barrier
	buffer_gl0_inv
	ds_write2_b32 v128, v53, v44 offset1:28
	ds_write2_b32 v143, v54, v49 offset1:28
	;; [unrolled: 1-line block ×17, first 2 shown]
	s_and_saveexec_b32 s1, s0
	s_cbranch_execz .LBB0_27
; %bb.26:
	v_mul_f32_e32 v12, v12, v57
	v_add_nc_u32_e32 v44, 0x1c00, v134
	v_fmac_f32_e32 v12, v14, v56
	v_sub_f32_e32 v12, v109, v12
	v_fma_f32 v14, v109, 2.0, -v12
	ds_write2_b32 v44, v14, v12 offset0:112 offset1:140
.LBB0_27:
	s_or_b32 exec_lo, exec_lo, s1
	v_mul_u32_u24_e32 v12, 6, v92
	s_waitcnt lgkmcnt(0)
	s_barrier
	buffer_gl0_inv
	v_mov_b32_e32 v14, 0x2493
	v_lshlrev_b32_e32 v12, 3, v12
	v_lshrrev_b16 v49, 3, v95
	s_clause 0x2
	global_load_dwordx4 v[53:56], v12, s[12:13] offset:416
	global_load_dwordx4 v[57:60], v12, s[12:13] offset:432
	;; [unrolled: 1-line block ×3, first 2 shown]
	v_lshrrev_b16 v12, 3, v96
	v_mul_u32_u24_sdwa v12, v12, v14 dst_sel:DWORD dst_unused:UNUSED_PAD src0_sel:WORD_0 src1_sel:DWORD
	v_lshrrev_b16 v14, 3, v94
	v_lshrrev_b32_e32 v12, 16, v12
	v_and_b32_e32 v14, 31, v14
	v_mul_lo_u16 v12, v12, 56
	v_mul_lo_u16 v14, v14, 37
	v_sub_nc_u16 v12, v96, v12
	v_lshrrev_b16 v14, 8, v14
	v_and_b32_e32 v12, 0xffff, v12
	v_mul_lo_u16 v14, v14, 56
	v_mul_u32_u24_e32 v44, 6, v12
	v_sub_nc_u16 v14, v94, v14
	v_lshl_add_u32 v12, v12, 2, 0
	v_lshlrev_b32_e32 v89, 3, v44
	v_and_b32_e32 v44, 31, v49
	s_clause 0x1
	global_load_dwordx4 v[65:68], v89, s[12:13] offset:432
	global_load_dwordx4 v[69:72], v89, s[12:13] offset:448
	v_mul_lo_u16 v44, v44, 37
	v_lshrrev_b16 v49, 8, v44
	v_and_b32_e32 v44, 0xff, v14
	v_mul_lo_u16 v14, v49, 56
	v_mul_u32_u24_e32 v49, 6, v44
	v_sub_nc_u16 v14, v95, v14
	v_lshlrev_b32_e32 v49, 3, v49
	v_and_b32_e32 v14, 0xff, v14
	s_clause 0x1
	global_load_dwordx4 v[73:76], v49, s[12:13] offset:416
	global_load_dwordx4 v[77:80], v49, s[12:13] offset:432
	v_mul_u32_u24_e32 v81, 6, v14
	v_lshl_add_u32 v14, v14, 2, 0
	v_lshlrev_b32_e32 v90, 3, v81
	s_clause 0x4
	global_load_dwordx4 v[81:84], v49, s[12:13] offset:448
	global_load_dwordx4 v[85:88], v90, s[12:13] offset:416
	;; [unrolled: 1-line block ×5, first 2 shown]
	ds_read_b32 v91, v97
	ds_read_b32 v145, v104
	ds_read2_b32 v[89:90], v15 offset0:48 offset1:104
	ds_read2_b32 v[119:120], v36 offset0:16 offset1:72
	;; [unrolled: 1-line block ×10, first 2 shown]
	ds_read2_b32 v[137:138], v47 offset1:56
	ds_read_b32 v146, v101
	ds_read_b32 v49, v102
	ds_read2_b32 v[139:140], v40 offset0:192 offset1:248
	ds_read2_b32 v[141:142], v52 offset0:112 offset1:168
	;; [unrolled: 1-line block ×3, first 2 shown]
	ds_read_b32 v45, v103
	ds_read_b32 v52, v99
	ds_read_b32 v147, v97 offset:7616
	s_waitcnt vmcnt(0) lgkmcnt(0)
	s_barrier
	buffer_gl0_inv
	v_mul_f32_e32 v148, v145, v54
	v_mul_f32_e32 v149, v51, v54
	;; [unrolled: 1-line block ×24, first 2 shown]
	v_fma_f32 v51, v51, v53, -v148
	v_fmac_f32_e32 v149, v145, v53
	v_fma_f32 v30, v30, v55, -v150
	v_fmac_f32_e32 v151, v89, v55
	;; [unrolled: 2-line block ×12, first 2 shown]
	v_add_f32_e32 v53, v51, v32
	v_add_f32_e32 v55, v149, v159
	v_sub_f32_e32 v32, v51, v32
	v_sub_f32_e32 v51, v149, v159
	v_add_f32_e32 v57, v30, v29
	v_add_f32_e32 v59, v151, v157
	v_sub_f32_e32 v29, v30, v29
	v_sub_f32_e32 v30, v151, v157
	v_add_f32_e32 v61, v1, v34
	v_add_f32_e32 v63, v153, v155
	v_sub_f32_e32 v1, v34, v1
	v_sub_f32_e32 v34, v155, v153
	v_add_f32_e32 v89, v10, v33
	v_add_f32_e32 v90, v54, v64
	v_sub_f32_e32 v10, v10, v33
	v_sub_f32_e32 v33, v54, v64
	v_add_f32_e32 v54, v31, v20
	v_add_f32_e32 v64, v56, v62
	v_sub_f32_e32 v20, v31, v20
	v_sub_f32_e32 v31, v56, v62
	v_add_f32_e32 v56, v24, v35
	v_sub_f32_e32 v24, v35, v24
	v_sub_f32_e32 v35, v60, v58
	v_add_f32_e32 v62, v58, v60
	v_add_f32_e32 v58, v57, v53
	;; [unrolled: 1-line block ×3, first 2 shown]
	v_sub_f32_e32 v120, v57, v53
	v_sub_f32_e32 v121, v59, v55
	;; [unrolled: 1-line block ×6, first 2 shown]
	v_add_f32_e32 v122, v1, v29
	v_add_f32_e32 v124, v34, v30
	v_sub_f32_e32 v125, v1, v29
	v_sub_f32_e32 v126, v34, v30
	;; [unrolled: 1-line block ×5, first 2 shown]
	v_add_f32_e32 v1, v54, v89
	v_add_f32_e32 v129, v64, v90
	;; [unrolled: 1-line block ×3, first 2 shown]
	v_sub_f32_e32 v151, v35, v31
	v_sub_f32_e32 v31, v31, v33
	;; [unrolled: 1-line block ×9, first 2 shown]
	v_add_f32_e32 v148, v24, v20
	v_sub_f32_e32 v150, v24, v20
	v_sub_f32_e32 v35, v33, v35
	;; [unrolled: 1-line block ×3, first 2 shown]
	v_add_f32_e32 v58, v61, v58
	v_add_f32_e32 v60, v63, v60
	;; [unrolled: 1-line block ×4, first 2 shown]
	v_mul_f32_e32 v53, 0x3f4a47b2, v53
	v_mul_f32_e32 v55, 0x3f4a47b2, v55
	;; [unrolled: 1-line block ×8, first 2 shown]
	v_add_f32_e32 v56, v56, v1
	v_add_f32_e32 v62, v62, v129
	v_mul_f32_e32 v151, 0xbf08b237, v151
	v_mul_f32_e32 v153, 0x3f5ff5aa, v31
	v_sub_f32_e32 v24, v10, v24
	v_add_f32_e32 v129, v148, v10
	v_add_f32_e32 v33, v149, v33
	v_mul_f32_e32 v89, 0x3f4a47b2, v89
	v_mul_f32_e32 v90, 0x3f4a47b2, v90
	;; [unrolled: 1-line block ×6, first 2 shown]
	v_add_f32_e32 v48, v48, v58
	v_add_f32_e32 v1, v91, v60
	v_fmamk_f32 v57, v57, 0x3d64c772, v53
	v_fmamk_f32 v59, v59, 0x3d64c772, v55
	v_fma_f32 v61, 0x3f3bfb3b, v120, -v61
	v_fma_f32 v63, 0x3f3bfb3b, v121, -v63
	;; [unrolled: 1-line block ×4, first 2 shown]
	v_fmamk_f32 v91, v127, 0x3eae86e6, v122
	v_fmamk_f32 v120, v34, 0x3eae86e6, v124
	v_fma_f32 v29, 0x3f5ff5aa, v29, -v122
	v_fma_f32 v30, 0x3f5ff5aa, v30, -v124
	;; [unrolled: 1-line block ×4, first 2 shown]
	v_add_f32_e32 v50, v50, v56
	v_add_f32_e32 v10, v52, v62
	v_fmamk_f32 v125, v35, 0x3eae86e6, v151
	v_fma_f32 v31, 0x3f5ff5aa, v31, -v151
	v_fma_f32 v35, 0xbeae86e6, v35, -v153
	v_fmamk_f32 v52, v54, 0x3d64c772, v89
	v_fmamk_f32 v54, v64, 0x3d64c772, v90
	v_fma_f32 v64, 0x3f3bfb3b, v131, -v148
	v_fma_f32 v122, 0x3f3bfb3b, v145, -v149
	;; [unrolled: 1-line block ×4, first 2 shown]
	v_fmamk_f32 v124, v24, 0x3eae86e6, v150
	v_fma_f32 v20, 0x3f5ff5aa, v20, -v150
	v_fma_f32 v24, 0xbeae86e6, v24, -v152
	v_fmamk_f32 v58, v58, 0xbf955555, v48
	v_fmamk_f32 v60, v60, 0xbf955555, v1
	v_fmac_f32_e32 v91, 0x3ee1c552, v32
	v_fmac_f32_e32 v120, 0x3ee1c552, v51
	;; [unrolled: 1-line block ×6, first 2 shown]
	v_fmamk_f32 v32, v56, 0xbf955555, v50
	v_fmamk_f32 v51, v62, 0xbf955555, v10
	v_fmac_f32_e32 v125, 0x3ee1c552, v33
	v_fmac_f32_e32 v31, 0x3ee1c552, v33
	;; [unrolled: 1-line block ×3, first 2 shown]
	v_mul_f32_e32 v33, v128, v74
	v_mul_f32_e32 v56, v11, v74
	;; [unrolled: 1-line block ×10, first 2 shown]
	v_fmac_f32_e32 v124, 0x3ee1c552, v129
	v_fmac_f32_e32 v20, 0x3ee1c552, v129
	;; [unrolled: 1-line block ×3, first 2 shown]
	v_mul_f32_e32 v76, v130, v78
	v_mul_f32_e32 v78, v25, v78
	;; [unrolled: 1-line block ×4, first 2 shown]
	v_add_f32_e32 v57, v57, v58
	v_add_f32_e32 v59, v59, v60
	;; [unrolled: 1-line block ×12, first 2 shown]
	v_fma_f32 v11, v11, v73, -v33
	v_fmac_f32_e32 v56, v128, v73
	v_fma_f32 v8, v8, v75, -v62
	v_fmac_f32_e32 v74, v133, v75
	;; [unrolled: 2-line block ×4, first 2 shown]
	v_mul_f32_e32 v127, v123, v68
	v_mul_f32_e32 v68, v28, v68
	;; [unrolled: 1-line block ×4, first 2 shown]
	v_fma_f32 v46, v46, v71, -v145
	v_fmac_f32_e32 v72, v147, v71
	v_fma_f32 v25, v25, v77, -v76
	v_fmac_f32_e32 v78, v130, v77
	;; [unrolled: 2-line block ×3, first 2 shown]
	v_add_f32_e32 v33, v120, v57
	v_add_f32_e32 v62, v34, v53
	;; [unrolled: 1-line block ×3, first 2 shown]
	v_sub_f32_e32 v63, v63, v29
	v_sub_f32_e32 v29, v53, v34
	;; [unrolled: 1-line block ×3, first 2 shown]
	v_add_f32_e32 v53, v125, v52
	v_sub_f32_e32 v73, v54, v124
	v_add_f32_e32 v57, v35, v32
	v_sub_f32_e32 v75, v51, v24
	;; [unrolled: 2-line block ×3, first 2 shown]
	v_sub_f32_e32 v20, v32, v35
	v_add_f32_e32 v79, v24, v51
	v_sub_f32_e32 v24, v52, v125
	v_add_f32_e32 v52, v124, v54
	v_add_f32_e32 v32, v11, v4
	;; [unrolled: 1-line block ×5, first 2 shown]
	v_fma_f32 v28, v28, v67, -v127
	v_fmac_f32_e32 v68, v123, v67
	v_fma_f32 v23, v23, v69, -v131
	v_fmac_f32_e32 v70, v144, v69
	v_sub_f32_e32 v67, v61, v30
	v_add_f32_e32 v30, v30, v61
	v_sub_f32_e32 v61, v58, v31
	v_add_f32_e32 v31, v31, v58
	v_sub_f32_e32 v4, v11, v4
	v_sub_f32_e32 v11, v56, v84
	;; [unrolled: 1-line block ×4, first 2 shown]
	v_add_f32_e32 v56, v25, v2
	v_add_f32_e32 v58, v78, v80
	v_sub_f32_e32 v2, v2, v25
	v_sub_f32_e32 v25, v80, v78
	v_add_f32_e32 v60, v51, v32
	v_add_f32_e32 v69, v54, v35
	v_sub_f32_e32 v74, v51, v32
	v_sub_f32_e32 v78, v54, v35
	;; [unrolled: 1-line block ×6, first 2 shown]
	v_add_f32_e32 v80, v2, v8
	v_add_f32_e32 v81, v25, v21
	v_sub_f32_e32 v82, v2, v8
	v_sub_f32_e32 v83, v25, v21
	;; [unrolled: 1-line block ×4, first 2 shown]
	v_add_f32_e32 v56, v56, v60
	v_add_f32_e32 v58, v58, v69
	v_sub_f32_e32 v2, v4, v2
	v_sub_f32_e32 v25, v11, v25
	v_add_f32_e32 v4, v80, v4
	v_add_f32_e32 v11, v81, v11
	v_mul_f32_e32 v32, 0x3f4a47b2, v32
	v_mul_f32_e32 v35, 0x3f4a47b2, v35
	;; [unrolled: 1-line block ×8, first 2 shown]
	v_add_f32_e32 v43, v43, v56
	v_add_f32_e32 v84, v146, v58
	v_mul_f32_e32 v150, v139, v86
	v_mul_f32_e32 v86, v6, v86
	;; [unrolled: 1-line block ×8, first 2 shown]
	v_fmamk_f32 v51, v51, 0x3d64c772, v32
	v_fmamk_f32 v54, v54, 0x3d64c772, v35
	v_fma_f32 v60, 0x3f3bfb3b, v74, -v60
	v_fma_f32 v69, 0x3f3bfb3b, v78, -v69
	v_fma_f32 v32, 0xbf3bfb3b, v74, -v32
	v_fma_f32 v35, 0xbf3bfb3b, v78, -v35
	v_fmamk_f32 v74, v2, 0x3eae86e6, v80
	v_fmamk_f32 v56, v56, 0xbf955555, v43
	;; [unrolled: 1-line block ×4, first 2 shown]
	v_fma_f32 v8, 0x3f5ff5aa, v8, -v80
	v_fma_f32 v21, 0x3f5ff5aa, v21, -v81
	;; [unrolled: 1-line block ×4, first 2 shown]
	v_mul_f32_e32 v152, v141, v108
	v_mul_f32_e32 v108, v26, v108
	;; [unrolled: 1-line block ×4, first 2 shown]
	v_fma_f32 v6, v6, v85, -v150
	v_fmac_f32_e32 v86, v139, v85
	v_fma_f32 v9, v9, v87, -v151
	v_fmac_f32_e32 v88, v134, v87
	;; [unrolled: 2-line block ×4, first 2 shown]
	v_add_f32_e32 v51, v51, v56
	v_add_f32_e32 v60, v60, v56
	;; [unrolled: 1-line block ×5, first 2 shown]
	v_fmac_f32_e32 v78, 0x3ee1c552, v11
	v_fmac_f32_e32 v8, 0x3ee1c552, v4
	;; [unrolled: 1-line block ×5, first 2 shown]
	v_fma_f32 v26, v26, v107, -v152
	v_fmac_f32_e32 v108, v141, v107
	v_fma_f32 v3, v3, v109, -v153
	v_fmac_f32_e32 v110, v136, v109
	v_add_f32_e32 v54, v54, v58
	v_fmac_f32_e32 v74, 0x3ee1c552, v4
	v_add_f32_e32 v4, v78, v51
	v_add_f32_e32 v56, v25, v32
	v_sub_f32_e32 v80, v35, v2
	v_sub_f32_e32 v58, v60, v21
	v_add_f32_e32 v81, v8, v69
	v_add_f32_e32 v21, v21, v60
	v_sub_f32_e32 v8, v69, v8
	v_sub_f32_e32 v25, v32, v25
	v_add_f32_e32 v2, v2, v35
	v_sub_f32_e32 v32, v51, v78
	v_add_f32_e32 v35, v6, v5
	v_add_f32_e32 v51, v86, v114
	;; [unrolled: 1-line block ×4, first 2 shown]
	v_sub_f32_e32 v11, v54, v74
	v_add_f32_e32 v54, v74, v54
	v_sub_f32_e32 v5, v6, v5
	v_sub_f32_e32 v6, v86, v114
	;; [unrolled: 1-line block ×4, first 2 shown]
	v_add_f32_e32 v74, v26, v3
	v_add_f32_e32 v78, v108, v110
	v_sub_f32_e32 v3, v3, v26
	v_sub_f32_e32 v26, v110, v108
	v_add_f32_e32 v82, v60, v35
	v_add_f32_e32 v83, v69, v51
	v_sub_f32_e32 v85, v60, v35
	v_sub_f32_e32 v86, v69, v51
	;; [unrolled: 1-line block ×6, first 2 shown]
	v_add_f32_e32 v87, v3, v9
	v_add_f32_e32 v88, v26, v22
	v_sub_f32_e32 v89, v3, v9
	v_sub_f32_e32 v90, v26, v22
	;; [unrolled: 1-line block ×3, first 2 shown]
	v_add_f32_e32 v74, v74, v82
	v_add_f32_e32 v78, v78, v83
	v_sub_f32_e32 v22, v22, v6
	v_sub_f32_e32 v3, v5, v3
	;; [unrolled: 1-line block ×3, first 2 shown]
	v_add_f32_e32 v5, v87, v5
	v_add_f32_e32 v6, v88, v6
	;; [unrolled: 1-line block ×4, first 2 shown]
	v_mul_f32_e32 v35, 0x3f4a47b2, v35
	v_mul_f32_e32 v49, 0x3f4a47b2, v51
	;; [unrolled: 1-line block ×12, first 2 shown]
	v_fmamk_f32 v74, v74, 0xbf955555, v39
	v_fmamk_f32 v78, v78, 0xbf955555, v82
	;; [unrolled: 1-line block ×4, first 2 shown]
	v_fma_f32 v51, 0x3f3bfb3b, v85, -v51
	v_fma_f32 v83, 0x3f3bfb3b, v86, -v83
	v_fma_f32 v35, 0xbf3bfb3b, v85, -v35
	v_fma_f32 v49, 0xbf3bfb3b, v86, -v49
	v_fmamk_f32 v85, v3, 0x3eae86e6, v87
	v_fmamk_f32 v86, v26, 0x3eae86e6, v88
	v_fma_f32 v9, 0x3f5ff5aa, v9, -v87
	v_fma_f32 v22, 0x3f5ff5aa, v22, -v88
	;; [unrolled: 1-line block ×4, first 2 shown]
	v_mul_f32_e32 v126, v142, v66
	v_mul_f32_e32 v66, v27, v66
	v_fma_f32 v7, v7, v115, -v156
	v_fmac_f32_e32 v116, v140, v115
	v_fma_f32 v0, v0, v117, -v157
	v_fmac_f32_e32 v118, v119, v117
	v_add_f32_e32 v60, v60, v74
	v_add_f32_e32 v69, v69, v78
	;; [unrolled: 1-line block ×6, first 2 shown]
	v_fmac_f32_e32 v85, 0x3ee1c552, v5
	v_fmac_f32_e32 v86, 0x3ee1c552, v6
	;; [unrolled: 1-line block ×6, first 2 shown]
	v_fma_f32 v27, v27, v65, -v126
	v_fmac_f32_e32 v66, v142, v65
	v_add_f32_e32 v5, v86, v60
	v_sub_f32_e32 v6, v69, v85
	v_add_f32_e32 v74, v26, v35
	v_sub_f32_e32 v78, v49, v3
	v_sub_f32_e32 v87, v51, v22
	v_add_f32_e32 v88, v9, v83
	v_add_f32_e32 v22, v22, v51
	v_sub_f32_e32 v9, v83, v9
	v_sub_f32_e32 v26, v35, v26
	v_add_f32_e32 v3, v3, v49
	v_sub_f32_e32 v35, v60, v86
	v_add_f32_e32 v83, v85, v69
	v_add_f32_e32 v49, v7, v46
	;; [unrolled: 1-line block ×5, first 2 shown]
	v_sub_f32_e32 v7, v7, v46
	v_sub_f32_e32 v46, v116, v72
	;; [unrolled: 1-line block ×4, first 2 shown]
	v_add_f32_e32 v70, v27, v28
	v_add_f32_e32 v72, v66, v68
	v_sub_f32_e32 v27, v28, v27
	v_sub_f32_e32 v28, v68, v66
	v_add_f32_e32 v66, v60, v49
	v_add_f32_e32 v68, v69, v51
	v_sub_f32_e32 v64, v59, v91
	v_add_f32_e32 v59, v91, v59
	v_sub_f32_e32 v85, v60, v49
	v_sub_f32_e32 v86, v69, v51
	;; [unrolled: 1-line block ×6, first 2 shown]
	v_add_f32_e32 v89, v27, v0
	v_add_f32_e32 v90, v28, v23
	v_sub_f32_e32 v91, v27, v0
	v_sub_f32_e32 v107, v28, v23
	;; [unrolled: 1-line block ×3, first 2 shown]
	v_add_f32_e32 v66, v70, v66
	v_add_f32_e32 v68, v72, v68
	v_sub_f32_e32 v27, v7, v27
	v_sub_f32_e32 v28, v46, v28
	v_sub_f32_e32 v23, v23, v46
	v_add_f32_e32 v7, v89, v7
	v_add_f32_e32 v46, v90, v46
	;; [unrolled: 1-line block ×4, first 2 shown]
	v_mul_f32_e32 v45, 0x3f4a47b2, v49
	v_mul_f32_e32 v49, 0x3f4a47b2, v51
	;; [unrolled: 1-line block ×7, first 2 shown]
	v_fmamk_f32 v66, v66, 0xbf955555, v38
	v_fmamk_f32 v68, v68, 0xbf955555, v70
	;; [unrolled: 1-line block ×4, first 2 shown]
	v_fma_f32 v51, 0x3f3bfb3b, v85, -v51
	v_fma_f32 v72, 0x3f3bfb3b, v86, -v72
	;; [unrolled: 1-line block ×4, first 2 shown]
	v_fmamk_f32 v85, v27, 0x3eae86e6, v89
	v_fmamk_f32 v86, v28, 0x3eae86e6, v90
	v_fma_f32 v0, 0x3f5ff5aa, v0, -v89
	v_fma_f32 v27, 0xbeae86e6, v27, -v91
	v_add_f32_e32 v60, v60, v66
	v_add_f32_e32 v72, v72, v68
	v_add_f32_e32 v49, v49, v68
	v_fmac_f32_e32 v86, 0x3ee1c552, v46
	v_fmac_f32_e32 v0, 0x3ee1c552, v7
	;; [unrolled: 1-line block ×3, first 2 shown]
	v_mul_f32_e32 v107, 0x3f5ff5aa, v23
	v_lshl_add_u32 v91, v44, 2, 0
	v_fma_f32 v23, 0x3f5ff5aa, v23, -v90
	v_fmac_f32_e32 v85, 0x3ee1c552, v7
	v_add_f32_e32 v7, v86, v60
	v_sub_f32_e32 v89, v49, v27
	v_add_f32_e32 v90, v0, v72
	v_sub_f32_e32 v0, v72, v0
	;; [unrolled: 2-line block ×3, first 2 shown]
	v_add_nc_u32_e32 v86, 0x200, v97
	v_add_nc_u32_e32 v60, 0x600, v97
	v_fma_f32 v28, 0xbeae86e6, v28, -v107
	v_add_nc_u32_e32 v107, 0xc00, v91
	v_add_f32_e32 v51, v51, v66
	v_fmac_f32_e32 v23, 0x3ee1c552, v46
	ds_write2_b32 v97, v48, v33 offset1:56
	ds_write2_b32 v97, v62, v67 offset0:112 offset1:168
	ds_write2_b32 v86, v30, v29 offset0:96 offset1:152
	;; [unrolled: 1-line block ×3, first 2 shown]
	ds_write_b32 v13, v53
	ds_write2_b32 v60, v57, v61 offset0:120 offset1:176
	ds_write2_b32 v15, v31, v20 offset0:104 offset1:160
	ds_write_b32 v97, v24 offset:2912
	ds_write2_b32 v107, v43, v4 offset0:16 offset1:72
	v_add_nc_u32_e32 v4, 0xe00, v91
	v_add_f32_e32 v45, v45, v66
	v_fmac_f32_e32 v28, 0x3ee1c552, v46
	v_add_nc_u32_e32 v108, 0x1000, v14
	v_add_nc_u32_e32 v109, 0x1400, v14
	v_add_f32_e32 v69, v69, v68
	v_sub_f32_e32 v68, v51, v23
	v_add_f32_e32 v23, v23, v51
	v_add_nc_u32_e32 v51, 0xa00, v97
	ds_write2_b32 v107, v56, v58 offset0:128 offset1:184
	ds_write2_b32 v4, v21, v25 offset0:112 offset1:168
	ds_write_b32 v91, v32 offset:4480
	ds_write2_b32 v108, v39, v5 offset0:152 offset1:208
	v_add_nc_u32_e32 v5, 0x1800, v12
	v_add_f32_e32 v46, v28, v45
	v_add_nc_u32_e32 v53, 0x1600, v97
	v_sub_f32_e32 v28, v45, v28
	ds_write2_b32 v109, v74, v87 offset0:8 offset1:64
	v_add_nc_u32_e32 v74, 0x1c00, v12
	v_add_nc_u32_e32 v62, 0x1a00, v97
	v_sub_f32_e32 v66, v69, v85
	v_add_f32_e32 v85, v85, v69
	ds_write2_b32 v109, v22, v26 offset0:120 offset1:176
	ds_write_b32 v14, v35 offset:6048
	ds_write2_b32 v5, v38, v7 offset0:32 offset1:88
	ds_write2_b32 v5, v46, v68 offset0:144 offset1:200
	ds_write2_b32 v74, v23, v28 offset1:56
	ds_write_b32 v12, v27 offset:7616
	s_waitcnt lgkmcnt(0)
	s_barrier
	buffer_gl0_inv
	ds_read2st64_b32 v[20:21], v97 offset1:7
	ds_read2_b32 v[22:23], v51 offset0:88 offset1:144
	ds_read2_b32 v[24:25], v41 offset0:152 offset1:208
	;; [unrolled: 1-line block ×9, first 2 shown]
	ds_read_b32 v68, v99
	ds_read_b32 v69, v101
	;; [unrolled: 1-line block ×4, first 2 shown]
	ds_read2_b32 v[43:44], v15 offset0:104 offset1:160
	ds_read2_b32 v[45:46], v42 offset0:120 offset1:176
	ds_read_b32 v57, v104
	ds_read2_b32 v[49:50], v41 offset0:40 offset1:96
	ds_read2_b32 v[47:48], v47 offset0:56 offset1:112
	ds_read_b32 v67, v106
	ds_read_b32 v58, v105
	v_sub_f32_e32 v65, v55, v121
	v_add_f32_e32 v55, v121, v55
	s_waitcnt lgkmcnt(0)
	s_barrier
	buffer_gl0_inv
	ds_write2_b32 v97, v1, v64 offset1:56
	ds_write2_b32 v97, v65, v71 offset0:112 offset1:168
	ds_write2_b32 v86, v63, v55 offset0:96 offset1:152
	;; [unrolled: 1-line block ×3, first 2 shown]
	ds_write_b32 v13, v73
	ds_write2_b32 v60, v75, v76 offset0:120 offset1:176
	ds_write2_b32 v15, v77, v79 offset0:104 offset1:160
	ds_write_b32 v97, v52 offset:2912
	ds_write2_b32 v107, v84, v11 offset0:16 offset1:72
	ds_write2_b32 v107, v80, v81 offset0:128 offset1:184
	ds_write2_b32 v4, v8, v2 offset0:112 offset1:168
	ds_write_b32 v91, v54 offset:4480
	ds_write2_b32 v108, v82, v6 offset0:152 offset1:208
	;; [unrolled: 4-line block ×3, first 2 shown]
	ds_write2_b32 v5, v89, v90 offset0:144 offset1:200
	ds_write2_b32 v74, v0, v72 offset1:56
	ds_write_b32 v12, v85 offset:7616
	s_waitcnt lgkmcnt(0)
	s_barrier
	buffer_gl0_inv
	s_and_saveexec_b32 s0, vcc_lo
	s_cbranch_execz .LBB0_29
; %bb.28:
	v_lshlrev_b32_e32 v54, 2, v100
	v_mov_b32_e32 v55, 0
	v_lshlrev_b32_e32 v3, 2, v98
	v_lshlrev_b32_e32 v2, 2, v96
	;; [unrolled: 1-line block ×4, first 2 shown]
	v_lshlrev_b64 v[0:1], 3, v[54:55]
	v_mov_b32_e32 v4, v55
	v_mov_b32_e32 v89, v55
	v_mul_lo_u32 v91, s4, v19
	v_lshlrev_b32_e32 v87, 2, v93
	v_add_nc_u32_e32 v59, 0xc00, v97
	v_add_co_u32 v6, vcc_lo, s12, v0
	v_add_co_ci_u32_e32 v7, vcc_lo, s13, v1, vcc_lo
	v_lshlrev_b64 v[0:1], 3, v[3:4]
	v_add_co_u32 v4, vcc_lo, 0xc20, v6
	v_add_co_ci_u32_e32 v5, vcc_lo, 0, v7, vcc_lo
	v_mov_b32_e32 v3, v55
	v_add_co_u32 v8, vcc_lo, s12, v0
	v_add_co_ci_u32_e32 v9, vcc_lo, s13, v1, vcc_lo
	v_add_co_u32 v0, vcc_lo, 0x800, v6
	v_add_co_ci_u32_e32 v1, vcc_lo, 0, v7, vcc_lo
	v_add_co_u32 v6, vcc_lo, 0x800, v8
	v_lshlrev_b64 v[63:64], 3, v[2:3]
	v_add_co_ci_u32_e32 v7, vcc_lo, 0, v9, vcc_lo
	v_add_co_u32 v41, vcc_lo, 0xc20, v8
	v_add_co_ci_u32_e32 v42, vcc_lo, 0, v9, vcc_lo
	s_clause 0x3
	global_load_dwordx4 v[8:11], v[0:1], off offset:1056
	global_load_dwordx4 v[12:15], v[4:5], off offset:16
	;; [unrolled: 1-line block ×4, first 2 shown]
	v_add_co_u32 v42, vcc_lo, s12, v63
	v_mov_b32_e32 v41, v55
	v_add_co_ci_u32_e32 v52, vcc_lo, s13, v64, vcc_lo
	v_add_co_u32 v63, vcc_lo, 0xc20, v42
	v_lshlrev_b64 v[40:41], 3, v[40:41]
	v_add_co_ci_u32_e32 v64, vcc_lo, 0, v52, vcc_lo
	v_add_co_u32 v65, vcc_lo, 0x800, v42
	v_add_co_ci_u32_e32 v66, vcc_lo, 0, v52, vcc_lo
	v_add_co_u32 v42, vcc_lo, s12, v40
	v_add_co_ci_u32_e32 v52, vcc_lo, s13, v41, vcc_lo
	s_clause 0x1
	global_load_dwordx4 v[71:74], v[65:66], off offset:1056
	global_load_dwordx4 v[75:78], v[63:64], off offset:16
	v_add_co_u32 v40, vcc_lo, 0x800, v42
	v_add_co_ci_u32_e32 v41, vcc_lo, 0, v52, vcc_lo
	v_add_co_u32 v63, vcc_lo, 0xc20, v42
	v_add_co_ci_u32_e32 v64, vcc_lo, 0, v52, vcc_lo
	s_clause 0x1
	global_load_dwordx4 v[79:82], v[40:41], off offset:1056
	global_load_dwordx4 v[83:86], v[63:64], off offset:16
	v_lshlrev_b64 v[89:90], 3, v[88:89]
	v_mul_lo_u32 v40, s5, v18
	v_mad_u64_u32 v[41:42], null, s4, v18, 0
	ds_read2_b32 v[18:19], v62 offset0:72 offset1:128
	v_add_nc_u32_e32 v66, 0x1c00, v97
	v_add_co_u32 v62, vcc_lo, s12, v89
	v_mov_b32_e32 v88, v55
	v_add_co_ci_u32_e32 v96, vcc_lo, s13, v90, vcc_lo
	v_add_nc_u32_e32 v93, 0x800, v97
	v_add_nc_u32_e32 v94, 0x1400, v97
	;; [unrolled: 1-line block ×3, first 2 shown]
	v_add_co_u32 v89, vcc_lo, 0x800, v62
	ds_read2_b32 v[51:52], v51 offset0:88 offset1:144
	ds_read2_b32 v[53:54], v53 offset0:104 offset1:160
	;; [unrolled: 1-line block ×3, first 2 shown]
	ds_read_b32 v60, v104
	ds_read_b32 v98, v106
	ds_read2_b32 v[122:123], v70 offset0:40 offset1:96
	ds_read2_b32 v[124:125], v66 offset0:56 offset1:112
	;; [unrolled: 1-line block ×4, first 2 shown]
	v_add_co_ci_u32_e32 v90, vcc_lo, 0, v96, vcc_lo
	ds_read2_b32 v[130:131], v59 offset0:184 offset1:240
	ds_read2_b32 v[132:133], v94 offset0:8 offset1:64
	v_lshlrev_b64 v[93:94], 3, v[87:88]
	v_add_co_u32 v95, vcc_lo, 0xc20, v62
	v_add_co_ci_u32_e32 v96, vcc_lo, 0, v96, vcc_lo
	v_mov_b32_e32 v66, v55
	v_add_co_u32 v55, vcc_lo, s12, v93
	global_load_dwordx4 v[87:90], v[89:90], off offset:1056
	v_add_co_ci_u32_e32 v62, vcc_lo, s13, v94, vcc_lo
	global_load_dwordx4 v[93:96], v[95:96], off offset:16
	v_lshlrev_b32_e32 v65, 2, v92
	v_add3_u32 v42, v42, v91, v40
	v_lshlrev_b64 v[16:17], 3, v[16:17]
	v_lshlrev_b64 v[65:66], 3, v[65:66]
	v_lshlrev_b64 v[41:42], 3, v[41:42]
	v_add_co_u32 v100, vcc_lo, s12, v65
	v_add_co_ci_u32_e32 v104, vcc_lo, s13, v66, vcc_lo
	v_add_co_u32 v65, vcc_lo, 0xc20, v55
	v_add_co_ci_u32_e32 v66, vcc_lo, 0, v62, vcc_lo
	;; [unrolled: 2-line block ×5, first 2 shown]
	s_clause 0x3
	global_load_dwordx4 v[106:109], v[106:107], off offset:1056
	global_load_dwordx4 v[110:113], v[65:66], off offset:16
	;; [unrolled: 1-line block ×4, first 2 shown]
	ds_read_b32 v105, v105
	ds_read_b32 v103, v103
	;; [unrolled: 1-line block ×3, first 2 shown]
	s_waitcnt vmcnt(13) lgkmcnt(13)
	v_mul_f32_e32 v40, v8, v51
	s_waitcnt lgkmcnt(8)
	v_mul_f32_e32 v55, v10, v123
	s_waitcnt vmcnt(12) lgkmcnt(7)
	v_mul_f32_e32 v62, v14, v125
	v_mul_f32_e32 v65, v12, v53
	;; [unrolled: 1-line block ×6, first 2 shown]
	v_fmac_f32_e32 v40, v22, v9
	v_fmac_f32_e32 v55, v50, v11
	v_fmac_f32_e32 v62, v48, v15
	v_fmac_f32_e32 v65, v26, v13
	v_fma_f32 v9, v50, v10, -v66
	v_fma_f32 v10, v26, v12, -v53
	;; [unrolled: 1-line block ×4, first 2 shown]
	s_waitcnt vmcnt(11) lgkmcnt(6)
	v_mul_f32_e32 v12, v0, v127
	v_mul_f32_e32 v22, v2, v122
	s_waitcnt vmcnt(10)
	v_mul_f32_e32 v26, v6, v124
	s_waitcnt lgkmcnt(5)
	v_mul_f32_e32 v48, v4, v129
	v_mul_f32_e32 v13, v3, v122
	;; [unrolled: 1-line block ×5, first 2 shown]
	s_waitcnt vmcnt(9)
	v_mul_f32_e32 v51, v71, v126
	s_waitcnt lgkmcnt(4)
	v_mul_f32_e32 v100, v74, v131
	s_waitcnt vmcnt(8)
	v_mul_f32_e32 v104, v76, v128
	v_mul_f32_e32 v66, v77, v19
	;; [unrolled: 1-line block ×5, first 2 shown]
	v_sub_f32_e32 v129, v40, v55
	s_waitcnt vmcnt(7)
	v_mul_f32_e32 v124, v79, v64
	s_waitcnt vmcnt(6)
	v_mul_f32_e32 v126, v85, v18
	v_mul_f32_e32 v64, v80, v64
	;; [unrolled: 1-line block ×3, first 2 shown]
	v_sub_f32_e32 v138, v40, v62
	v_sub_f32_e32 v140, v55, v40
	v_add_f32_e32 v142, v40, v62
	s_waitcnt lgkmcnt(2)
	v_add_f32_e32 v40, v40, v105
	v_fmac_f32_e32 v12, v44, v1
	v_fmac_f32_e32 v22, v49, v3
	;; [unrolled: 1-line block ×4, first 2 shown]
	v_fma_f32 v49, v49, v2, -v13
	v_fma_f32 v146, v46, v4, -v14
	;; [unrolled: 1-line block ×4, first 2 shown]
	v_fmac_f32_e32 v51, v43, v72
	v_fma_f32 v44, v37, v73, -v100
	v_fma_f32 v72, v45, v75, -v104
	v_mul_f32_e32 v53, v73, v131
	v_mul_f32_e32 v125, v83, v133
	;; [unrolled: 1-line block ×3, first 2 shown]
	v_sub_f32_e32 v133, v8, v11
	v_add_f32_e32 v134, v55, v65
	v_sub_f32_e32 v135, v8, v9
	v_sub_f32_e32 v143, v9, v8
	;; [unrolled: 1-line block ×3, first 2 shown]
	v_add_f32_e32 v145, v8, v11
	v_add_f32_e32 v8, v58, v8
	v_fmac_f32_e32 v66, v39, v78
	v_fmac_f32_e32 v91, v45, v76
	v_fma_f32 v5, v43, v71, -v122
	v_fma_f32 v71, v39, v77, -v19
	v_fmac_f32_e32 v126, v38, v86
	v_fma_f32 v64, v35, v79, -v64
	v_fma_f32 v75, v38, v85, -v18
	v_add_f32_e32 v13, v55, v40
	v_add_f32_e32 v15, v22, v48
	v_sub_f32_e32 v38, v22, v12
	v_sub_f32_e32 v39, v48, v26
	v_add_f32_e32 v40, v12, v26
	v_sub_f32_e32 v43, v49, v4
	v_sub_f32_e32 v45, v146, v47
	v_add_f32_e32 v78, v12, v60
	v_add_f32_e32 v79, v57, v4
	;; [unrolled: 1-line block ×3, first 2 shown]
	v_mul_f32_e32 v123, v81, v130
	v_mul_f32_e32 v127, v82, v130
	v_sub_f32_e32 v130, v62, v65
	v_sub_f32_e32 v131, v9, v10
	;; [unrolled: 1-line block ×3, first 2 shown]
	v_add_f32_e32 v137, v9, v10
	v_sub_f32_e32 v139, v55, v65
	v_sub_f32_e32 v141, v65, v62
	v_fmac_f32_e32 v53, v37, v74
	v_fmac_f32_e32 v125, v33, v84
	v_fma_f32 v33, v33, v83, -v128
	v_fma_f32 v1, -0.5, v134, v105
	v_add_f32_e32 v73, v143, v144
	v_add_f32_e32 v8, v8, v9
	v_sub_f32_e32 v9, v12, v22
	v_sub_f32_e32 v77, v22, v48
	v_add_f32_e32 v46, v4, v47
	v_sub_f32_e32 v104, v51, v66
	v_add_f32_e32 v128, v51, v66
	v_add_f32_e32 v65, v65, v13
	v_fma_f32 v15, -0.5, v15, v60
	v_add_f32_e32 v143, v38, v39
	v_fma_f32 v13, -0.5, v40, v60
	v_add_f32_e32 v60, v43, v45
	v_add_f32_e32 v22, v22, v78
	;; [unrolled: 1-line block ×3, first 2 shown]
	v_fma_f32 v45, -0.5, v100, v56
	v_fmac_f32_e32 v123, v36, v82
	v_fmac_f32_e32 v124, v35, v80
	v_fma_f32 v76, v36, v81, -v127
	v_add_f32_e32 v35, v129, v130
	v_add_f32_e32 v36, v135, v136
	v_fma_f32 v0, -0.5, v137, v58
	v_fma_f32 v3, -0.5, v142, v105
	v_sub_f32_e32 v14, v26, v48
	v_sub_f32_e32 v18, v4, v49
	;; [unrolled: 1-line block ×3, first 2 shown]
	v_add_f32_e32 v37, v49, v146
	v_sub_f32_e32 v74, v12, v26
	v_sub_f32_e32 v80, v51, v53
	;; [unrolled: 1-line block ×9, first 2 shown]
	v_add_f32_e32 v134, v5, v71
	s_waitcnt lgkmcnt(1)
	v_add_f32_e32 v51, v51, v103
	v_add_f32_e32 v135, v56, v5
	v_fmamk_f32 v5, v133, 0x3f737871, v1
	v_fmac_f32_e32 v1, 0xbf737871, v133
	v_fma_f32 v12, -0.5, v46, v57
	v_fma_f32 v38, -0.5, v128, v103
	v_add_f32_e32 v22, v48, v22
	v_add_f32_e32 v48, v39, v146
	v_fmamk_f32 v39, v104, 0xbf737871, v45
	v_fmac_f32_e32 v45, 0x3f737871, v104
	v_add_f32_e32 v50, v140, v141
	v_fma_f32 v2, -0.5, v145, v58
	v_sub_f32_e32 v58, v4, v47
	v_add_f32_e32 v84, v53, v91
	v_sub_f32_e32 v127, v91, v66
	v_fmamk_f32 v4, v138, 0xbf737871, v0
	v_fmamk_f32 v7, v131, 0xbf737871, v3
	v_fmac_f32_e32 v3, 0x3f737871, v131
	v_fmac_f32_e32 v0, 0x3f737871, v138
	v_add_f32_e32 v141, v9, v14
	v_add_f32_e32 v142, v18, v19
	v_fma_f32 v14, -0.5, v37, v57
	v_add_f32_e32 v57, v85, v86
	v_add_f32_e32 v51, v53, v51
	;; [unrolled: 1-line block ×3, first 2 shown]
	v_fmac_f32_e32 v5, 0x3f167918, v131
	v_fmac_f32_e32 v1, 0xbf167918, v131
	v_fmamk_f32 v18, v77, 0x3f737871, v12
	v_fmac_f32_e32 v12, 0xbf737871, v77
	v_fmamk_f32 v44, v82, 0xbf737871, v38
	v_fmac_f32_e32 v38, 0x3f737871, v82
	v_fmac_f32_e32 v39, 0xbf167918, v105
	;; [unrolled: 1-line block ×3, first 2 shown]
	v_sub_f32_e32 v55, v49, v146
	v_sub_f32_e32 v136, v123, v124
	v_add_f32_e32 v137, v124, v126
	v_fmamk_f32 v6, v139, 0x3f737871, v2
	v_fmac_f32_e32 v2, 0xbf737871, v139
	v_fma_f32 v46, -0.5, v84, v103
	v_add_f32_e32 v78, v122, v127
	v_fmac_f32_e32 v4, 0xbf167918, v139
	v_fmac_f32_e32 v7, 0x3f167918, v133
	;; [unrolled: 1-line block ×4, first 2 shown]
	v_add_f32_e32 v51, v91, v51
	v_fmac_f32_e32 v5, 0x3e9e377a, v35
	v_fmac_f32_e32 v1, 0x3e9e377a, v35
	;; [unrolled: 1-line block ×3, first 2 shown]
	v_add_f32_e32 v35, v47, v48
	v_fmac_f32_e32 v12, 0x3f167918, v74
	v_fmac_f32_e32 v44, 0x3f167918, v83
	;; [unrolled: 1-line block ×5, first 2 shown]
	v_sub_f32_e32 v47, v125, v126
	v_sub_f32_e32 v48, v76, v64
	;; [unrolled: 1-line block ×3, first 2 shown]
	v_add_f32_e32 v53, v53, v72
	v_sub_f32_e32 v81, v66, v91
	v_sub_f32_e32 v130, v72, v71
	v_add_f32_e32 v8, v8, v10
	v_fma_f32 v37, -0.5, v134, v56
	v_fmac_f32_e32 v6, 0xbf167918, v138
	v_fmac_f32_e32 v2, 0x3f167918, v138
	v_fmamk_f32 v19, v55, 0xbf737871, v13
	v_fmac_f32_e32 v13, 0x3f737871, v55
	v_fmamk_f32 v40, v83, 0x3f737871, v46
	v_fmac_f32_e32 v46, 0xbf737871, v83
	v_fmac_f32_e32 v4, 0x3e9e377a, v36
	;; [unrolled: 1-line block ×5, first 2 shown]
	v_add_f32_e32 v36, v26, v22
	ds_read_b32 v22, v101
	ds_read_b32 v84, v99
	v_fmac_f32_e32 v18, 0x3e9e377a, v60
	v_fmac_f32_e32 v12, 0x3e9e377a, v60
	;; [unrolled: 1-line block ×4, first 2 shown]
	s_waitcnt lgkmcnt(2)
	v_fma_f32 v50, -0.5, v137, v102
	v_sub_f32_e32 v26, v76, v33
	v_add_f32_e32 v60, v136, v47
	v_add_f32_e32 v78, v48, v57
	;; [unrolled: 1-line block ×5, first 2 shown]
	ds_read2_b32 v[71:72], v59 offset0:72 offset1:128
	v_add_nc_u32_e32 v66, 0x1800, v97
	v_add_f32_e32 v140, v64, v75
	v_add_f32_e32 v49, v80, v81
	;; [unrolled: 1-line block ×4, first 2 shown]
	v_fmamk_f32 v11, v58, 0x3f737871, v15
	v_fmamk_f32 v10, v74, 0xbf737871, v14
	v_fmac_f32_e32 v15, 0xbf737871, v58
	v_fmac_f32_e32 v14, 0x3f737871, v74
	v_fmamk_f32 v43, v105, 0x3f737871, v37
	v_fmac_f32_e32 v37, 0xbf737871, v105
	v_fmac_f32_e32 v6, 0x3e9e377a, v73
	;; [unrolled: 1-line block ×7, first 2 shown]
	v_sub_f32_e32 v62, v64, v75
	v_fmamk_f32 v56, v26, 0xbf737871, v50
	v_fmac_f32_e32 v50, 0x3f737871, v26
	v_sub_f32_e32 v53, v124, v123
	v_sub_f32_e32 v57, v126, v125
	v_fma_f32 v58, -0.5, v51, v102
	v_add_f32_e32 v51, v76, v33
	ds_read2_b32 v[73:74], v66 offset0:88 offset1:144
	v_add_f32_e32 v79, v129, v130
	v_fmac_f32_e32 v43, 0xbf167918, v104
	v_fmac_f32_e32 v37, 0x3f167918, v104
	;; [unrolled: 1-line block ×4, first 2 shown]
	v_fma_f32 v49, -0.5, v140, v61
	v_sub_f32_e32 v65, v123, v125
	v_fmac_f32_e32 v56, 0x3f167918, v62
	v_fmac_f32_e32 v50, 0xbf167918, v62
	v_add_f32_e32 v53, v53, v57
	v_fma_f32 v57, -0.5, v51, v61
	v_add_f32_e32 v61, v61, v64
	v_fmac_f32_e32 v11, 0x3f167918, v55
	v_fmac_f32_e32 v10, 0xbf167918, v77
	;; [unrolled: 1-line block ×6, first 2 shown]
	v_fmamk_f32 v55, v65, 0x3f737871, v49
	v_sub_f32_e32 v77, v124, v126
	v_fmac_f32_e32 v56, 0x3e9e377a, v60
	v_fmac_f32_e32 v49, 0xbf737871, v65
	;; [unrolled: 1-line block ×3, first 2 shown]
	v_fmamk_f32 v60, v62, 0xbf737871, v58
	v_sub_f32_e32 v51, v64, v76
	v_sub_f32_e32 v79, v75, v33
	v_add_f32_e32 v80, v124, v102
	v_add_f32_e32 v61, v76, v61
	v_fmac_f32_e32 v58, 0x3f737871, v62
	v_fmac_f32_e32 v55, 0xbf167918, v77
	;; [unrolled: 1-line block ×4, first 2 shown]
	v_add_f32_e32 v51, v51, v79
	v_add_f32_e32 v64, v123, v80
	;; [unrolled: 1-line block ×3, first 2 shown]
	s_waitcnt vmcnt(5) lgkmcnt(1)
	v_mul_f32_e32 v79, v89, v72
	v_fmac_f32_e32 v58, 0x3f167918, v26
	s_waitcnt vmcnt(4)
	v_mul_f32_e32 v26, v93, v132
	v_fmac_f32_e32 v55, 0x3e9e377a, v78
	v_fmac_f32_e32 v49, 0x3e9e377a, v78
	v_add_f32_e32 v64, v125, v64
	v_mul_f32_e32 v78, v87, v63
	v_add_f32_e32 v61, v33, v75
	v_fmac_f32_e32 v79, v29, v90
	s_waitcnt lgkmcnt(0)
	v_mul_f32_e32 v80, v95, v74
	v_mul_f32_e32 v33, v88, v63
	;; [unrolled: 1-line block ×3, first 2 shown]
	v_fmac_f32_e32 v26, v32, v94
	v_add_f32_e32 v62, v126, v64
	v_fmac_f32_e32 v78, v34, v88
	v_mul_f32_e32 v64, v90, v72
	v_fma_f32 v81, v31, v95, -v63
	v_fmac_f32_e32 v80, v31, v96
	v_add_f32_e32 v31, v79, v26
	v_fma_f32 v72, v34, v87, -v33
	v_fma_f32 v29, v29, v89, -v64
	v_fmac_f32_e32 v60, 0x3e9e377a, v53
	v_sub_f32_e32 v33, v80, v26
	v_fma_f32 v64, -0.5, v31, v22
	v_sub_f32_e32 v31, v78, v79
	v_mul_f32_e32 v66, v94, v132
	v_fmac_f32_e32 v58, 0x3e9e377a, v53
	v_fmamk_f32 v59, v77, 0x3f737871, v57
	v_fmac_f32_e32 v57, 0xbf737871, v77
	v_add_f32_e32 v53, v31, v33
	v_add_f32_e32 v33, v78, v80
	v_fma_f32 v82, v32, v93, -v66
	v_sub_f32_e32 v76, v26, v80
	v_fmac_f32_e32 v59, 0x3f167918, v65
	v_fmac_f32_e32 v57, 0xbf167918, v65
	v_fma_f32 v66, -0.5, v33, v22
	v_sub_f32_e32 v33, v79, v78
	v_sub_f32_e32 v65, v72, v29
	;; [unrolled: 1-line block ×3, first 2 shown]
	v_add_f32_e32 v75, v72, v81
	v_sub_f32_e32 v77, v82, v81
	v_add_f32_e32 v88, v33, v76
	v_sub_f32_e32 v76, v29, v72
	v_add_f32_e32 v87, v65, v74
	v_fma_f32 v65, -0.5, v75, v69
	ds_read2st64_b32 v[74:75], v97 offset1:7
	v_sub_f32_e32 v83, v72, v81
	v_add_f32_e32 v89, v76, v77
	ds_read2_b32 v[76:77], v70 offset0:152 offset1:208
	v_add_f32_e32 v34, v29, v82
	v_sub_f32_e32 v86, v79, v26
	v_fmac_f32_e32 v59, 0x3e9e377a, v51
	v_sub_f32_e32 v85, v29, v82
	v_fmamk_f32 v32, v83, 0x3f737871, v64
	v_fmac_f32_e32 v57, 0x3e9e377a, v51
	v_fma_f32 v63, -0.5, v34, v69
	v_sub_f32_e32 v51, v78, v80
	v_fmamk_f32 v33, v86, 0x3f737871, v65
	v_fmac_f32_e32 v65, 0xbf737871, v86
	v_fmac_f32_e32 v64, 0xbf737871, v83
	v_add_f32_e32 v22, v78, v22
	v_fmac_f32_e32 v32, 0x3f167918, v85
	v_fmamk_f32 v31, v51, 0xbf737871, v63
	v_fmac_f32_e32 v33, 0xbf167918, v51
	v_fmac_f32_e32 v65, 0x3f167918, v51
	;; [unrolled: 1-line block ×4, first 2 shown]
	v_add_f32_e32 v22, v79, v22
	v_add_f32_e32 v51, v69, v72
	v_fmac_f32_e32 v32, 0x3e9e377a, v53
	s_waitcnt vmcnt(3)
	v_mul_f32_e32 v78, v108, v71
	v_fmac_f32_e32 v64, 0x3e9e377a, v53
	s_waitcnt lgkmcnt(1)
	v_mul_f32_e32 v53, v106, v75
	v_add_f32_e32 v22, v26, v22
	v_add_f32_e32 v26, v51, v29
	s_waitcnt vmcnt(2) lgkmcnt(0)
	v_mul_f32_e32 v51, v110, v77
	v_mul_f32_e32 v79, v112, v73
	;; [unrolled: 1-line block ×5, first 2 shown]
	v_fmac_f32_e32 v53, v21, v107
	v_fmac_f32_e32 v78, v28, v109
	v_mul_f32_e32 v29, v107, v75
	v_fmac_f32_e32 v51, v25, v111
	v_fma_f32 v75, v30, v112, -v69
	v_fmac_f32_e32 v79, v30, v113
	v_fma_f32 v30, v28, v108, -v70
	v_fma_f32 v77, v25, v110, -v71
	v_fmamk_f32 v34, v85, 0xbf737871, v66
	v_fmac_f32_e32 v66, 0x3f737871, v85
	v_fma_f32 v73, v21, v106, -v29
	v_add_f32_e32 v21, v78, v51
	v_sub_f32_e32 v25, v53, v78
	v_sub_f32_e32 v28, v79, v51
	v_add_f32_e32 v69, v30, v77
	v_fmac_f32_e32 v34, 0x3f167918, v83
	v_fmac_f32_e32 v66, 0xbf167918, v83
	v_sub_f32_e32 v83, v73, v75
	v_fma_f32 v29, -0.5, v21, v84
	v_add_f32_e32 v22, v80, v22
	v_add_f32_e32 v80, v25, v28
	v_sub_f32_e32 v25, v73, v30
	v_sub_f32_e32 v70, v75, v77
	v_fma_f32 v28, -0.5, v69, v68
	v_add_f32_e32 v69, v53, v79
	v_add_f32_e32 v71, v73, v75
	v_fmac_f32_e32 v31, 0xbf167918, v86
	v_fmac_f32_e32 v63, 0x3f167918, v86
	v_add_f32_e32 v21, v26, v82
	v_sub_f32_e32 v82, v30, v77
	v_fmamk_f32 v26, v83, 0x3f737871, v29
	v_add_f32_e32 v85, v25, v70
	v_fma_f32 v70, -0.5, v69, v84
	v_sub_f32_e32 v86, v78, v51
	v_fma_f32 v69, -0.5, v71, v68
	v_fmac_f32_e32 v29, 0xbf737871, v83
	v_fmac_f32_e32 v31, 0x3e9e377a, v87
	;; [unrolled: 1-line block ×3, first 2 shown]
	v_add_f32_e32 v21, v81, v21
	v_sub_f32_e32 v81, v53, v79
	v_sub_f32_e32 v87, v78, v53
	v_add_f32_e32 v53, v53, v84
	v_fmac_f32_e32 v26, 0x3f167918, v82
	v_fmamk_f32 v71, v86, 0x3f737871, v69
	v_fmac_f32_e32 v69, 0xbf737871, v86
	v_fmac_f32_e32 v29, 0xbf167918, v82
	v_fmamk_f32 v25, v81, 0xbf737871, v28
	v_fmac_f32_e32 v28, 0x3f737871, v81
	v_add_f32_e32 v53, v78, v53
	v_fmac_f32_e32 v26, 0x3e9e377a, v80
	v_fmac_f32_e32 v71, 0xbf167918, v81
	;; [unrolled: 1-line block ×4, first 2 shown]
	s_waitcnt vmcnt(1)
	v_mul_f32_e32 v80, v116, v52
	s_waitcnt vmcnt(0)
	v_mul_f32_e32 v81, v118, v76
	v_fmac_f32_e32 v34, 0x3e9e377a, v88
	v_fmac_f32_e32 v33, 0x3e9e377a, v89
	;; [unrolled: 1-line block ×4, first 2 shown]
	v_sub_f32_e32 v88, v51, v79
	v_fmamk_f32 v72, v82, 0xbf737871, v70
	v_sub_f32_e32 v89, v30, v73
	v_fmac_f32_e32 v25, 0xbf167918, v86
	v_fmac_f32_e32 v70, 0x3f737871, v82
	;; [unrolled: 1-line block ×3, first 2 shown]
	v_mul_f32_e32 v78, v114, v98
	v_add_f32_e32 v51, v51, v53
	v_add_f32_e32 v53, v68, v73
	v_mul_f32_e32 v82, v120, v54
	v_mul_f32_e32 v68, v115, v98
	;; [unrolled: 1-line block ×5, first 2 shown]
	v_fmac_f32_e32 v80, v23, v117
	v_fmac_f32_e32 v81, v24, v119
	;; [unrolled: 1-line block ×7, first 2 shown]
	v_fma_f32 v83, v67, v114, -v68
	v_fma_f32 v84, v27, v120, -v54
	v_fmac_f32_e32 v82, v27, v121
	v_fma_f32 v27, v23, v116, -v52
	v_fma_f32 v85, v24, v118, -v73
	v_add_f32_e32 v54, v80, v81
	v_add_f32_e32 v23, v53, v30
	;; [unrolled: 1-line block ×3, first 2 shown]
	v_sub_f32_e32 v67, v83, v27
	v_sub_f32_e32 v68, v84, v85
	v_fma_f32 v24, -0.5, v54, v74
	v_add_f32_e32 v54, v79, v51
	v_mul_hi_u32 v79, 0x5397829d, v92
	v_sub_f32_e32 v90, v77, v75
	v_add_f32_e32 v51, v23, v77
	v_add_f32_e32 v77, v67, v68
	v_fma_f32 v68, -0.5, v73, v74
	v_sub_f32_e32 v67, v80, v78
	v_sub_f32_e32 v73, v81, v82
	v_add_f32_e32 v87, v87, v88
	v_add_f32_e32 v88, v89, v90
	v_sub_f32_e32 v91, v85, v84
	v_lshrrev_b32_e32 v79, 7, v79
	v_add_f32_e32 v90, v67, v73
	v_sub_f32_e32 v73, v27, v83
	v_sub_f32_e32 v30, v78, v80
	;; [unrolled: 1-line block ×4, first 2 shown]
	v_add_f32_e32 v23, v27, v85
	v_add_f32_e32 v91, v73, v91
	v_mul_u32_u24_e32 v73, 0x188, v79
	v_add_f32_e32 v30, v30, v53
	v_add_f32_e32 v53, v75, v51
	;; [unrolled: 1-line block ×4, first 2 shown]
	v_sub_nc_u32_e32 v93, v92, v73
	v_fmac_f32_e32 v72, 0x3e9e377a, v87
	v_fmac_f32_e32 v71, 0x3e9e377a, v88
	;; [unrolled: 1-line block ×4, first 2 shown]
	v_sub_f32_e32 v87, v27, v85
	v_fmamk_f32 v52, v86, 0x3f737871, v24
	v_fma_f32 v23, -0.5, v23, v20
	v_sub_f32_e32 v88, v78, v82
	v_fma_f32 v67, -0.5, v75, v20
	v_fmac_f32_e32 v24, 0xbf737871, v86
	v_add_f32_e32 v20, v20, v83
	v_add_f32_e32 v78, v80, v74
	v_mad_u64_u32 v[73:74], null, s2, v93, 0
	v_fmac_f32_e32 v52, 0x3f167918, v87
	v_fmamk_f32 v51, v88, 0xbf737871, v23
	v_sub_f32_e32 v89, v80, v81
	v_fmac_f32_e32 v24, 0xbf167918, v87
	v_fmac_f32_e32 v23, 0x3f737871, v88
	v_add_f32_e32 v20, v20, v27
	v_add_f32_e32 v27, v81, v78
	v_fmac_f32_e32 v52, 0x3e9e377a, v30
	v_fmac_f32_e32 v51, 0xbf167918, v89
	;; [unrolled: 1-line block ×4, first 2 shown]
	v_add_f32_e32 v30, v20, v85
	v_mov_b32_e32 v20, v74
	v_add_f32_e32 v78, v82, v27
	v_add_nc_u32_e32 v27, 0x188, v93
	v_fmac_f32_e32 v51, 0x3e9e377a, v77
	v_fmac_f32_e32 v23, 0x3e9e377a, v77
	v_add_f32_e32 v77, v84, v30
	v_mad_u64_u32 v[79:80], null, s3, v93, v[20:21]
	v_add_co_u32 v30, vcc_lo, s10, v41
	v_mad_u64_u32 v[80:81], null, s2, v27, 0
	v_add_co_ci_u32_e32 v41, vcc_lo, s11, v42, vcc_lo
	v_add_co_u32 v16, vcc_lo, v30, v16
	v_add_nc_u32_e32 v30, 0x310, v93
	v_mov_b32_e32 v74, v79
	v_mov_b32_e32 v20, v81
	v_fmamk_f32 v76, v87, 0x3f737871, v68
	v_fmac_f32_e32 v68, 0xbf737871, v87
	v_add_nc_u32_e32 v87, 56, v92
	v_mad_u64_u32 v[82:83], null, s2, v30, 0
	v_add_nc_u32_e32 v79, 0x498, v93
	v_add_co_ci_u32_e32 v17, vcc_lo, v41, v17, vcc_lo
	v_lshlrev_b64 v[41:42], 3, v[73:74]
	v_mad_u64_u32 v[73:74], null, s3, v27, v[20:21]
	v_mul_hi_u32 v74, 0x5397829d, v87
	v_fmamk_f32 v75, v89, 0xbf737871, v67
	v_fmac_f32_e32 v67, 0x3f737871, v89
	v_mad_u64_u32 v[84:85], null, s2, v79, 0
	v_mov_b32_e32 v20, v83
	v_fmac_f32_e32 v75, 0x3f167918, v88
	v_fmac_f32_e32 v67, 0xbf167918, v88
	v_mov_b32_e32 v81, v73
	v_lshrrev_b32_e32 v88, 7, v74
	v_mad_u64_u32 v[73:74], null, s3, v30, v[20:21]
	v_add_co_u32 v41, vcc_lo, v16, v41
	v_mov_b32_e32 v27, v85
	v_add_co_ci_u32_e32 v42, vcc_lo, v17, v42, vcc_lo
	v_fmac_f32_e32 v76, 0xbf167918, v86
	v_fmac_f32_e32 v68, 0x3f167918, v86
	v_mad_u64_u32 v[85:86], null, s3, v79, v[27:28]
	v_mov_b32_e32 v83, v73
	global_store_dwordx2 v[41:42], v[77:78], off
	v_lshlrev_b64 v[41:42], 3, v[80:81]
	v_mul_u32_u24_e32 v20, 0x188, v88
	v_add_nc_u32_e32 v27, 0x620, v93
	v_lshlrev_b64 v[77:78], 3, v[82:83]
	v_lshlrev_b64 v[79:80], 3, v[84:85]
	v_fmac_f32_e32 v76, 0x3e9e377a, v90
	v_sub_nc_u32_e32 v20, v87, v20
	v_add_co_u32 v41, vcc_lo, v16, v41
	v_add_co_ci_u32_e32 v42, vcc_lo, v17, v42, vcc_lo
	v_add_co_u32 v77, vcc_lo, v16, v77
	v_mad_u64_u32 v[73:74], null, s2, v27, 0
	v_mad_u32_u24 v30, 0x7a8, v88, v20
	v_add_co_ci_u32_e32 v78, vcc_lo, v17, v78, vcc_lo
	v_add_co_u32 v79, vcc_lo, v16, v79
	v_fmac_f32_e32 v75, 0x3e9e377a, v91
	v_fmac_f32_e32 v68, 0x3e9e377a, v90
	;; [unrolled: 1-line block ×3, first 2 shown]
	v_add_co_ci_u32_e32 v80, vcc_lo, v17, v80, vcc_lo
	v_mad_u64_u32 v[81:82], null, s2, v30, 0
	global_store_dwordx2 v[41:42], v[23:24], off
	global_store_dwordx2 v[77:78], v[75:76], off
	;; [unrolled: 1-line block ×3, first 2 shown]
	v_add_nc_u32_e32 v75, 0x188, v30
	v_mov_b32_e32 v20, v74
	v_add_nc_u32_e32 v77, 0x310, v30
	v_add_nc_u32_e32 v79, 0x70, v92
	v_fmac_f32_e32 v15, 0x3e9e377a, v141
	v_mad_u64_u32 v[41:42], null, s2, v75, 0
	v_mad_u64_u32 v[83:84], null, s3, v27, v[20:21]
	;; [unrolled: 1-line block ×3, first 2 shown]
	v_mov_b32_e32 v20, v82
	v_fmac_f32_e32 v14, 0x3e9e377a, v142
	v_fmac_f32_e32 v13, 0x3e9e377a, v143
	;; [unrolled: 1-line block ×3, first 2 shown]
	v_mov_b32_e32 v74, v83
	v_mad_u64_u32 v[84:85], null, s3, v30, v[20:21]
	v_mov_b32_e32 v20, v42
	v_mul_hi_u32 v42, 0x5397829d, v79
	v_mov_b32_e32 v27, v68
	v_lshlrev_b64 v[23:24], 3, v[73:74]
	v_fmac_f32_e32 v11, 0x3e9e377a, v141
	v_mad_u64_u32 v[75:76], null, s3, v75, v[20:21]
	v_mad_u64_u32 v[76:77], null, s3, v77, v[27:28]
	v_add_nc_u32_e32 v27, 0x498, v30
	v_mov_b32_e32 v82, v84
	v_lshrrev_b32_e32 v80, 7, v42
	v_add_co_u32 v23, vcc_lo, v16, v23
	v_mad_u64_u32 v[77:78], null, s2, v27, 0
	v_lshlrev_b64 v[73:74], 3, v[81:82]
	v_add_co_ci_u32_e32 v24, vcc_lo, v17, v24, vcc_lo
	v_mul_u32_u24_e32 v20, 0x188, v80
	v_add_nc_u32_e32 v30, 0x620, v30
	v_mov_b32_e32 v42, v75
	v_add_co_u32 v73, vcc_lo, v16, v73
	global_store_dwordx2 v[23:24], v[51:52], off
	v_sub_nc_u32_e32 v51, v79, v20
	v_mov_b32_e32 v20, v78
	v_add_co_ci_u32_e32 v74, vcc_lo, v17, v74, vcc_lo
	v_mov_b32_e32 v68, v76
	v_mad_u32_u24 v79, 0x7a8, v80, v51
	v_mad_u64_u32 v[51:52], null, s3, v27, v[20:21]
	global_store_dwordx2 v[73:74], v[53:54], off
	v_mad_u64_u32 v[52:53], null, s2, v30, 0
	v_lshlrev_b64 v[23:24], 3, v[41:42]
	v_lshlrev_b64 v[41:42], 3, v[67:68]
	v_mad_u64_u32 v[67:68], null, s2, v79, 0
	v_mov_b32_e32 v78, v51
	v_add_nc_u32_e32 v51, 0x310, v79
	v_mov_b32_e32 v20, v53
	v_add_co_u32 v23, vcc_lo, v16, v23
	v_lshlrev_b64 v[53:54], 3, v[77:78]
	v_mov_b32_e32 v27, v68
	v_mad_u64_u32 v[73:74], null, s3, v30, v[20:21]
	v_add_co_ci_u32_e32 v24, vcc_lo, v17, v24, vcc_lo
	v_add_co_u32 v41, vcc_lo, v16, v41
	v_add_co_ci_u32_e32 v42, vcc_lo, v17, v42, vcc_lo
	v_mad_u64_u32 v[74:75], null, s3, v79, v[27:28]
	v_add_nc_u32_e32 v30, 0x188, v79
	v_add_co_u32 v75, vcc_lo, v16, v53
	v_add_co_ci_u32_e32 v76, vcc_lo, v17, v54, vcc_lo
	v_mov_b32_e32 v53, v73
	v_add_nc_u32_e32 v54, 0xa8, v92
	v_mad_u64_u32 v[77:78], null, s2, v30, 0
	global_store_dwordx2 v[23:24], v[28:29], off
	v_lshlrev_b64 v[23:24], 3, v[52:53]
	v_mul_hi_u32 v52, 0x5397829d, v54
	global_store_dwordx2 v[41:42], v[69:70], off
	v_mad_u64_u32 v[41:42], null, s2, v51, 0
	v_mov_b32_e32 v20, v78
	v_mov_b32_e32 v68, v74
	v_add_co_u32 v23, vcc_lo, v16, v23
	v_lshrrev_b32_e32 v53, 7, v52
	v_mad_u64_u32 v[29:30], null, s3, v30, v[20:21]
	v_add_co_ci_u32_e32 v24, vcc_lo, v17, v24, vcc_lo
	v_mov_b32_e32 v20, v42
	v_mul_u32_u24_e32 v42, 0x188, v53
	v_lshlrev_b64 v[27:28], 3, v[67:68]
	v_add_nc_u32_e32 v67, 0x498, v79
	global_store_dwordx2 v[75:76], v[71:72], off
	global_store_dwordx2 v[23:24], v[25:26], off
	v_sub_nc_u32_e32 v23, v54, v42
	v_mov_b32_e32 v78, v29
	v_mad_u64_u32 v[29:30], null, s3, v51, v[20:21]
	v_mad_u64_u32 v[51:52], null, s2, v67, 0
	v_add_nc_u32_e32 v30, 0x620, v79
	v_add_co_u32 v27, vcc_lo, v16, v27
	v_add_co_ci_u32_e32 v28, vcc_lo, v17, v28, vcc_lo
	v_mad_u32_u24 v53, 0x7a8, v53, v23
	v_mad_u64_u32 v[23:24], null, s2, v30, 0
	global_store_dwordx2 v[27:28], v[21:22], off
	v_mov_b32_e32 v22, v52
	v_mad_u64_u32 v[25:26], null, s2, v53, 0
	v_mov_b32_e32 v42, v29
	v_lshlrev_b64 v[20:21], 3, v[77:78]
	v_mad_u64_u32 v[27:28], null, s3, v67, v[22:23]
	v_mov_b32_e32 v22, v24
	v_lshlrev_b64 v[28:29], 3, v[41:42]
	v_mov_b32_e32 v24, v26
	v_add_co_u32 v20, vcc_lo, v16, v20
	v_add_co_ci_u32_e32 v21, vcc_lo, v17, v21, vcc_lo
	v_mov_b32_e32 v52, v27
	v_mad_u64_u32 v[26:27], null, s3, v30, v[22:23]
	v_mad_u64_u32 v[41:42], null, s3, v53, v[24:25]
	v_add_nc_u32_e32 v42, 0x188, v53
	v_add_co_u32 v27, vcc_lo, v16, v28
	v_add_co_ci_u32_e32 v28, vcc_lo, v17, v29, vcc_lo
	v_mad_u64_u32 v[29:30], null, s2, v42, 0
	v_mov_b32_e32 v24, v26
	global_store_dwordx2 v[20:21], v[63:64], off
	v_lshlrev_b64 v[20:21], 3, v[51:52]
	v_mov_b32_e32 v26, v41
	v_add_nc_u32_e32 v51, 0x310, v53
	v_lshlrev_b64 v[23:24], 3, v[23:24]
	v_mov_b32_e32 v22, v30
	global_store_dwordx2 v[27:28], v[65:66], off
	v_add_co_u32 v20, vcc_lo, v16, v20
	v_lshlrev_b64 v[25:26], 3, v[25:26]
	v_mad_u64_u32 v[27:28], null, s3, v42, v[22:23]
	v_mad_u64_u32 v[41:42], null, s2, v51, 0
	v_add_co_ci_u32_e32 v21, vcc_lo, v17, v21, vcc_lo
	v_add_co_u32 v22, vcc_lo, v16, v23
	v_add_co_ci_u32_e32 v23, vcc_lo, v17, v24, vcc_lo
	v_add_co_u32 v24, vcc_lo, v16, v25
	v_add_co_ci_u32_e32 v25, vcc_lo, v17, v26, vcc_lo
	v_mov_b32_e32 v26, v42
	v_add_nc_u32_e32 v63, 0x498, v53
	v_add_nc_u32_e32 v53, 0x620, v53
	v_mov_b32_e32 v30, v27
	v_add_nc_u32_e32 v54, 0xe0, v92
	v_mad_u64_u32 v[26:27], null, s3, v51, v[26:27]
	v_mad_u64_u32 v[27:28], null, s2, v63, 0
	;; [unrolled: 1-line block ×3, first 2 shown]
	v_mul_hi_u32 v42, 0x5397829d, v54
	global_store_dwordx2 v[20:21], v[33:34], off
	global_store_dwordx2 v[22:23], v[31:32], off
	;; [unrolled: 1-line block ×3, first 2 shown]
	v_lshlrev_b64 v[20:21], 3, v[29:30]
	v_fmac_f32_e32 v10, 0x3e9e377a, v142
	v_mov_b32_e32 v22, v28
	v_mov_b32_e32 v23, v52
	v_lshrrev_b32_e32 v31, 7, v42
	v_mov_b32_e32 v42, v26
	v_add_co_u32 v20, vcc_lo, v16, v20
	v_mad_u64_u32 v[24:25], null, s3, v63, v[22:23]
	v_mul_u32_u24_e32 v26, 0x188, v31
	v_add_co_ci_u32_e32 v21, vcc_lo, v17, v21, vcc_lo
	v_mad_u64_u32 v[22:23], null, s3, v53, v[23:24]
	v_sub_nc_u32_e32 v23, v54, v26
	v_lshlrev_b64 v[25:26], 3, v[41:42]
	v_mov_b32_e32 v28, v24
	v_mad_u32_u24 v53, 0x7a8, v31, v23
	v_mov_b32_e32 v52, v22
	v_add_co_u32 v24, vcc_lo, v16, v25
	v_add_co_ci_u32_e32 v25, vcc_lo, v17, v26, vcc_lo
	v_add_nc_u32_e32 v34, 0x188, v53
	v_mad_u64_u32 v[22:23], null, s2, v53, 0
	v_lshlrev_b64 v[26:27], 3, v[27:28]
	v_lshlrev_b64 v[28:29], 3, v[51:52]
	v_mad_u64_u32 v[30:31], null, s2, v34, 0
	v_mad_u64_u32 v[32:33], null, s3, v53, v[23:24]
	v_add_co_u32 v26, vcc_lo, v16, v26
	v_mov_b32_e32 v23, v31
	v_add_co_ci_u32_e32 v27, vcc_lo, v17, v27, vcc_lo
	v_add_co_u32 v28, vcc_lo, v16, v28
	v_mad_u64_u32 v[33:34], null, s3, v34, v[23:24]
	v_add_co_ci_u32_e32 v29, vcc_lo, v17, v29, vcc_lo
	v_mov_b32_e32 v23, v32
	global_store_dwordx2 v[20:21], v[59:60], off
	global_store_dwordx2 v[24:25], v[49:50], off
	;; [unrolled: 1-line block ×4, first 2 shown]
	v_add_nc_u32_e32 v28, 0x310, v53
	v_add_nc_u32_e32 v32, 0x498, v53
	v_mov_b32_e32 v31, v33
	v_add_nc_u32_e32 v33, 0x118, v92
	v_lshlrev_b64 v[20:21], 3, v[22:23]
	v_mad_u64_u32 v[22:23], null, s2, v28, 0
	v_mad_u64_u32 v[24:25], null, s2, v32, 0
	v_mul_hi_u32 v29, 0x5397829d, v33
	v_lshlrev_b64 v[26:27], 3, v[30:31]
	v_add_nc_u32_e32 v34, 0x620, v53
	v_add_co_u32 v20, vcc_lo, v16, v20
	v_add_co_ci_u32_e32 v21, vcc_lo, v17, v21, vcc_lo
	v_lshrrev_b32_e32 v41, 7, v29
	v_mad_u64_u32 v[28:29], null, s3, v28, v[23:24]
	v_mov_b32_e32 v23, v25
	v_mad_u64_u32 v[29:30], null, s2, v34, 0
	v_add_co_u32 v25, vcc_lo, v16, v26
	v_mad_u64_u32 v[31:32], null, s3, v32, v[23:24]
	v_mov_b32_e32 v23, v28
	v_mul_u32_u24_e32 v42, 0x188, v41
	v_add_co_ci_u32_e32 v26, vcc_lo, v17, v27, vcc_lo
	global_store_dwordx2 v[20:21], v[47:48], off
	global_store_dwordx2 v[25:26], v[45:46], off
	v_lshlrev_b64 v[21:22], 3, v[22:23]
	v_sub_nc_u32_e32 v27, v33, v42
	v_mov_b32_e32 v20, v30
	v_mov_b32_e32 v25, v31
	v_mad_u32_u24 v32, 0x7a8, v41, v27
	v_mad_u64_u32 v[26:27], null, s3, v34, v[20:21]
	v_add_co_u32 v20, vcc_lo, v16, v21
	v_mad_u64_u32 v[27:28], null, s2, v32, 0
	v_add_nc_u32_e32 v33, 0x188, v32
	v_add_co_ci_u32_e32 v21, vcc_lo, v17, v22, vcc_lo
	v_lshlrev_b64 v[22:23], 3, v[24:25]
	v_mov_b32_e32 v30, v26
	v_mad_u64_u32 v[25:26], null, s2, v33, 0
	v_mov_b32_e32 v24, v28
	v_add_nc_u32_e32 v34, 0x150, v92
	v_add_co_u32 v22, vcc_lo, v16, v22
	v_lshlrev_b64 v[28:29], 3, v[29:30]
	v_add_co_ci_u32_e32 v23, vcc_lo, v17, v23, vcc_lo
	global_store_dwordx2 v[20:21], v[37:38], off
	global_store_dwordx2 v[22:23], v[43:44], off
	v_mov_b32_e32 v20, v26
	v_add_co_u32 v21, vcc_lo, v16, v28
	v_mad_u64_u32 v[30:31], null, s3, v32, v[24:25]
	v_add_co_ci_u32_e32 v22, vcc_lo, v17, v29, vcc_lo
	v_mad_u64_u32 v[23:24], null, s3, v33, v[20:21]
	v_add_nc_u32_e32 v33, 0x498, v32
	v_add_nc_u32_e32 v31, 0x310, v32
	v_mov_b32_e32 v28, v30
	global_store_dwordx2 v[21:22], v[39:40], off
	v_add_nc_u32_e32 v37, 0x620, v32
	v_mad_u64_u32 v[29:30], null, s2, v33, 0
	v_mov_b32_e32 v26, v23
	v_lshlrev_b64 v[20:21], 3, v[27:28]
	v_mad_u64_u32 v[27:28], null, s2, v31, 0
	v_lshlrev_b64 v[23:24], 3, v[25:26]
	v_mov_b32_e32 v25, v30
	v_add_co_u32 v20, vcc_lo, v16, v20
	v_add_co_ci_u32_e32 v21, vcc_lo, v17, v21, vcc_lo
	v_mov_b32_e32 v22, v28
	v_mad_u64_u32 v[25:26], null, s3, v33, v[25:26]
	v_mul_hi_u32 v26, 0x5397829d, v34
	global_store_dwordx2 v[20:21], v[35:36], off
	v_mad_u64_u32 v[30:31], null, s3, v31, v[22:23]
	v_mad_u64_u32 v[31:32], null, s2, v37, 0
	v_add_co_u32 v22, vcc_lo, v16, v23
	v_add_co_ci_u32_e32 v23, vcc_lo, v17, v24, vcc_lo
	v_lshrrev_b32_e32 v24, 7, v26
	v_mov_b32_e32 v28, v30
	v_mov_b32_e32 v30, v25
	global_store_dwordx2 v[22:23], v[14:15], off
	v_mov_b32_e32 v14, v32
	v_mul_u32_u24_e32 v25, 0x188, v24
	v_lshlrev_b64 v[20:21], 3, v[27:28]
	v_lshlrev_b64 v[22:23], 3, v[29:30]
	v_mad_u64_u32 v[14:15], null, s3, v37, v[14:15]
	v_sub_nc_u32_e32 v15, v34, v25
	v_add_co_u32 v20, vcc_lo, v16, v20
	v_add_co_ci_u32_e32 v21, vcc_lo, v17, v21, vcc_lo
	v_mad_u32_u24 v26, 0x7a8, v24, v15
	v_add_co_u32 v22, vcc_lo, v16, v22
	v_add_co_ci_u32_e32 v23, vcc_lo, v17, v23, vcc_lo
	v_add_nc_u32_e32 v27, 0x310, v26
	v_mov_b32_e32 v32, v14
	v_mad_u64_u32 v[14:15], null, s2, v26, 0
	v_add_nc_u32_e32 v24, 0x188, v26
	global_store_dwordx2 v[20:21], v[12:13], off
	v_mad_u64_u32 v[20:21], null, s2, v27, 0
	global_store_dwordx2 v[22:23], v[18:19], off
	v_mad_u64_u32 v[18:19], null, s2, v24, 0
	v_lshlrev_b64 v[12:13], 3, v[31:32]
	v_mad_u64_u32 v[22:23], null, s3, v26, v[15:16]
	v_add_nc_u32_e32 v29, 0x498, v26
	v_mov_b32_e32 v15, v21
	v_add_nc_u32_e32 v30, 0x620, v26
	v_mad_u64_u32 v[23:24], null, s3, v24, v[19:20]
	v_add_co_u32 v12, vcc_lo, v16, v12
	v_mad_u64_u32 v[24:25], null, s2, v29, 0
	v_add_co_ci_u32_e32 v13, vcc_lo, v17, v13, vcc_lo
	v_mad_u64_u32 v[26:27], null, s3, v27, v[15:16]
	v_mov_b32_e32 v15, v22
	v_mad_u64_u32 v[27:28], null, s2, v30, 0
	global_store_dwordx2 v[12:13], v[10:11], off
	v_mov_b32_e32 v10, v25
	v_lshlrev_b64 v[11:12], 3, v[14:15]
	v_mov_b32_e32 v19, v23
	v_mov_b32_e32 v21, v26
	v_mad_u64_u32 v[13:14], null, s3, v29, v[10:11]
	v_mov_b32_e32 v10, v28
	v_add_co_u32 v11, vcc_lo, v16, v11
	v_lshlrev_b64 v[14:15], 3, v[18:19]
	v_add_co_ci_u32_e32 v12, vcc_lo, v17, v12, vcc_lo
	v_mad_u64_u32 v[18:19], null, s3, v30, v[10:11]
	v_mov_b32_e32 v25, v13
	v_lshlrev_b64 v[19:20], 3, v[20:21]
	v_add_co_u32 v13, vcc_lo, v16, v14
	v_add_co_ci_u32_e32 v14, vcc_lo, v17, v15, vcc_lo
	v_mov_b32_e32 v28, v18
	v_lshlrev_b64 v[21:22], 3, v[24:25]
	v_add_co_u32 v18, vcc_lo, v16, v19
	v_add_co_ci_u32_e32 v19, vcc_lo, v17, v20, vcc_lo
	v_lshlrev_b64 v[23:24], 3, v[27:28]
	v_add_co_u32 v20, vcc_lo, v16, v21
	v_add_co_ci_u32_e32 v21, vcc_lo, v17, v22, vcc_lo
	v_add_co_u32 v15, vcc_lo, v16, v23
	v_add_co_ci_u32_e32 v16, vcc_lo, v17, v24, vcc_lo
	global_store_dwordx2 v[11:12], v[8:9], off
	global_store_dwordx2 v[13:14], v[0:1], off
	;; [unrolled: 1-line block ×5, first 2 shown]
.LBB0_29:
	s_endpgm
	.section	.rodata,"a",@progbits
	.p2align	6, 0x0
	.amdhsa_kernel fft_rtc_fwd_len1960_factors_4_7_2_7_5_wgs_56_tpt_56_halfLds_sp_op_CI_CI_sbrr_dirReg
		.amdhsa_group_segment_fixed_size 0
		.amdhsa_private_segment_fixed_size 0
		.amdhsa_kernarg_size 104
		.amdhsa_user_sgpr_count 6
		.amdhsa_user_sgpr_private_segment_buffer 1
		.amdhsa_user_sgpr_dispatch_ptr 0
		.amdhsa_user_sgpr_queue_ptr 0
		.amdhsa_user_sgpr_kernarg_segment_ptr 1
		.amdhsa_user_sgpr_dispatch_id 0
		.amdhsa_user_sgpr_flat_scratch_init 0
		.amdhsa_user_sgpr_private_segment_size 0
		.amdhsa_wavefront_size32 1
		.amdhsa_uses_dynamic_stack 0
		.amdhsa_system_sgpr_private_segment_wavefront_offset 0
		.amdhsa_system_sgpr_workgroup_id_x 1
		.amdhsa_system_sgpr_workgroup_id_y 0
		.amdhsa_system_sgpr_workgroup_id_z 0
		.amdhsa_system_sgpr_workgroup_info 0
		.amdhsa_system_vgpr_workitem_id 0
		.amdhsa_next_free_vgpr 171
		.amdhsa_next_free_sgpr 31
		.amdhsa_reserve_vcc 1
		.amdhsa_reserve_flat_scratch 0
		.amdhsa_float_round_mode_32 0
		.amdhsa_float_round_mode_16_64 0
		.amdhsa_float_denorm_mode_32 3
		.amdhsa_float_denorm_mode_16_64 3
		.amdhsa_dx10_clamp 1
		.amdhsa_ieee_mode 1
		.amdhsa_fp16_overflow 0
		.amdhsa_workgroup_processor_mode 1
		.amdhsa_memory_ordered 1
		.amdhsa_forward_progress 0
		.amdhsa_shared_vgpr_count 0
		.amdhsa_exception_fp_ieee_invalid_op 0
		.amdhsa_exception_fp_denorm_src 0
		.amdhsa_exception_fp_ieee_div_zero 0
		.amdhsa_exception_fp_ieee_overflow 0
		.amdhsa_exception_fp_ieee_underflow 0
		.amdhsa_exception_fp_ieee_inexact 0
		.amdhsa_exception_int_div_zero 0
	.end_amdhsa_kernel
	.text
.Lfunc_end0:
	.size	fft_rtc_fwd_len1960_factors_4_7_2_7_5_wgs_56_tpt_56_halfLds_sp_op_CI_CI_sbrr_dirReg, .Lfunc_end0-fft_rtc_fwd_len1960_factors_4_7_2_7_5_wgs_56_tpt_56_halfLds_sp_op_CI_CI_sbrr_dirReg
                                        ; -- End function
	.section	.AMDGPU.csdata,"",@progbits
; Kernel info:
; codeLenInByte = 22556
; NumSgprs: 33
; NumVgprs: 171
; ScratchSize: 0
; MemoryBound: 0
; FloatMode: 240
; IeeeMode: 1
; LDSByteSize: 0 bytes/workgroup (compile time only)
; SGPRBlocks: 4
; VGPRBlocks: 21
; NumSGPRsForWavesPerEU: 33
; NumVGPRsForWavesPerEU: 171
; Occupancy: 5
; WaveLimiterHint : 1
; COMPUTE_PGM_RSRC2:SCRATCH_EN: 0
; COMPUTE_PGM_RSRC2:USER_SGPR: 6
; COMPUTE_PGM_RSRC2:TRAP_HANDLER: 0
; COMPUTE_PGM_RSRC2:TGID_X_EN: 1
; COMPUTE_PGM_RSRC2:TGID_Y_EN: 0
; COMPUTE_PGM_RSRC2:TGID_Z_EN: 0
; COMPUTE_PGM_RSRC2:TIDIG_COMP_CNT: 0
	.text
	.p2alignl 6, 3214868480
	.fill 48, 4, 3214868480
	.type	__hip_cuid_3ae9e03af6938c16,@object ; @__hip_cuid_3ae9e03af6938c16
	.section	.bss,"aw",@nobits
	.globl	__hip_cuid_3ae9e03af6938c16
__hip_cuid_3ae9e03af6938c16:
	.byte	0                               ; 0x0
	.size	__hip_cuid_3ae9e03af6938c16, 1

	.ident	"AMD clang version 19.0.0git (https://github.com/RadeonOpenCompute/llvm-project roc-6.4.0 25133 c7fe45cf4b819c5991fe208aaa96edf142730f1d)"
	.section	".note.GNU-stack","",@progbits
	.addrsig
	.addrsig_sym __hip_cuid_3ae9e03af6938c16
	.amdgpu_metadata
---
amdhsa.kernels:
  - .args:
      - .actual_access:  read_only
        .address_space:  global
        .offset:         0
        .size:           8
        .value_kind:     global_buffer
      - .offset:         8
        .size:           8
        .value_kind:     by_value
      - .actual_access:  read_only
        .address_space:  global
        .offset:         16
        .size:           8
        .value_kind:     global_buffer
      - .actual_access:  read_only
        .address_space:  global
        .offset:         24
        .size:           8
        .value_kind:     global_buffer
      - .actual_access:  read_only
        .address_space:  global
        .offset:         32
        .size:           8
        .value_kind:     global_buffer
      - .offset:         40
        .size:           8
        .value_kind:     by_value
      - .actual_access:  read_only
        .address_space:  global
        .offset:         48
        .size:           8
        .value_kind:     global_buffer
      - .actual_access:  read_only
        .address_space:  global
        .offset:         56
        .size:           8
        .value_kind:     global_buffer
      - .offset:         64
        .size:           4
        .value_kind:     by_value
      - .actual_access:  read_only
        .address_space:  global
        .offset:         72
        .size:           8
        .value_kind:     global_buffer
      - .actual_access:  read_only
        .address_space:  global
        .offset:         80
        .size:           8
        .value_kind:     global_buffer
      - .actual_access:  read_only
        .address_space:  global
        .offset:         88
        .size:           8
        .value_kind:     global_buffer
      - .actual_access:  write_only
        .address_space:  global
        .offset:         96
        .size:           8
        .value_kind:     global_buffer
    .group_segment_fixed_size: 0
    .kernarg_segment_align: 8
    .kernarg_segment_size: 104
    .language:       OpenCL C
    .language_version:
      - 2
      - 0
    .max_flat_workgroup_size: 56
    .name:           fft_rtc_fwd_len1960_factors_4_7_2_7_5_wgs_56_tpt_56_halfLds_sp_op_CI_CI_sbrr_dirReg
    .private_segment_fixed_size: 0
    .sgpr_count:     33
    .sgpr_spill_count: 0
    .symbol:         fft_rtc_fwd_len1960_factors_4_7_2_7_5_wgs_56_tpt_56_halfLds_sp_op_CI_CI_sbrr_dirReg.kd
    .uniform_work_group_size: 1
    .uses_dynamic_stack: false
    .vgpr_count:     171
    .vgpr_spill_count: 0
    .wavefront_size: 32
    .workgroup_processor_mode: 1
amdhsa.target:   amdgcn-amd-amdhsa--gfx1030
amdhsa.version:
  - 1
  - 2
...

	.end_amdgpu_metadata
